;; amdgpu-corpus repo=ROCm/rocFFT kind=compiled arch=gfx906 opt=O3
	.text
	.amdgcn_target "amdgcn-amd-amdhsa--gfx906"
	.amdhsa_code_object_version 6
	.protected	fft_rtc_back_len1352_factors_2_13_13_4_wgs_52_tpt_52_halfLds_dp_op_CI_CI_unitstride_sbrr_C2R_dirReg ; -- Begin function fft_rtc_back_len1352_factors_2_13_13_4_wgs_52_tpt_52_halfLds_dp_op_CI_CI_unitstride_sbrr_C2R_dirReg
	.globl	fft_rtc_back_len1352_factors_2_13_13_4_wgs_52_tpt_52_halfLds_dp_op_CI_CI_unitstride_sbrr_C2R_dirReg
	.p2align	8
	.type	fft_rtc_back_len1352_factors_2_13_13_4_wgs_52_tpt_52_halfLds_dp_op_CI_CI_unitstride_sbrr_C2R_dirReg,@function
fft_rtc_back_len1352_factors_2_13_13_4_wgs_52_tpt_52_halfLds_dp_op_CI_CI_unitstride_sbrr_C2R_dirReg: ; @fft_rtc_back_len1352_factors_2_13_13_4_wgs_52_tpt_52_halfLds_dp_op_CI_CI_unitstride_sbrr_C2R_dirReg
; %bb.0:
	s_load_dwordx4 s[8:11], s[4:5], 0x58
	s_load_dwordx4 s[12:15], s[4:5], 0x0
	;; [unrolled: 1-line block ×3, first 2 shown]
	v_mul_u32_u24_e32 v1, 0x4ed, v0
	v_add_u32_sdwa v5, s6, v1 dst_sel:DWORD dst_unused:UNUSED_PAD src0_sel:DWORD src1_sel:WORD_1
	v_mov_b32_e32 v3, 0
	s_waitcnt lgkmcnt(0)
	v_cmp_lt_u64_e64 s[0:1], s[14:15], 2
	v_mov_b32_e32 v1, 0
	v_mov_b32_e32 v6, v3
	s_and_b64 vcc, exec, s[0:1]
	v_mov_b32_e32 v2, 0
	s_cbranch_vccnz .LBB0_8
; %bb.1:
	s_load_dwordx2 s[0:1], s[4:5], 0x10
	s_add_u32 s2, s18, 8
	s_addc_u32 s3, s19, 0
	s_add_u32 s6, s16, 8
	v_mov_b32_e32 v1, 0
	s_addc_u32 s7, s17, 0
	v_mov_b32_e32 v2, 0
	s_waitcnt lgkmcnt(0)
	s_add_u32 s20, s0, 8
	v_mov_b32_e32 v153, v2
	s_addc_u32 s21, s1, 0
	s_mov_b64 s[22:23], 1
	v_mov_b32_e32 v152, v1
.LBB0_2:                                ; =>This Inner Loop Header: Depth=1
	s_load_dwordx2 s[24:25], s[20:21], 0x0
                                        ; implicit-def: $vgpr156_vgpr157
	s_waitcnt lgkmcnt(0)
	v_or_b32_e32 v4, s25, v6
	v_cmp_ne_u64_e32 vcc, 0, v[3:4]
	s_and_saveexec_b64 s[0:1], vcc
	s_xor_b64 s[26:27], exec, s[0:1]
	s_cbranch_execz .LBB0_4
; %bb.3:                                ;   in Loop: Header=BB0_2 Depth=1
	v_cvt_f32_u32_e32 v4, s24
	v_cvt_f32_u32_e32 v7, s25
	s_sub_u32 s0, 0, s24
	s_subb_u32 s1, 0, s25
	v_mac_f32_e32 v4, 0x4f800000, v7
	v_rcp_f32_e32 v4, v4
	v_mul_f32_e32 v4, 0x5f7ffffc, v4
	v_mul_f32_e32 v7, 0x2f800000, v4
	v_trunc_f32_e32 v7, v7
	v_mac_f32_e32 v4, 0xcf800000, v7
	v_cvt_u32_f32_e32 v7, v7
	v_cvt_u32_f32_e32 v4, v4
	v_mul_lo_u32 v8, s0, v7
	v_mul_hi_u32 v9, s0, v4
	v_mul_lo_u32 v11, s1, v4
	v_mul_lo_u32 v10, s0, v4
	v_add_u32_e32 v8, v9, v8
	v_add_u32_e32 v8, v8, v11
	v_mul_hi_u32 v9, v4, v10
	v_mul_lo_u32 v11, v4, v8
	v_mul_hi_u32 v13, v4, v8
	v_mul_hi_u32 v12, v7, v10
	v_mul_lo_u32 v10, v7, v10
	v_mul_hi_u32 v14, v7, v8
	v_add_co_u32_e32 v9, vcc, v9, v11
	v_addc_co_u32_e32 v11, vcc, 0, v13, vcc
	v_mul_lo_u32 v8, v7, v8
	v_add_co_u32_e32 v9, vcc, v9, v10
	v_addc_co_u32_e32 v9, vcc, v11, v12, vcc
	v_addc_co_u32_e32 v10, vcc, 0, v14, vcc
	v_add_co_u32_e32 v8, vcc, v9, v8
	v_addc_co_u32_e32 v9, vcc, 0, v10, vcc
	v_add_co_u32_e32 v4, vcc, v4, v8
	v_addc_co_u32_e32 v7, vcc, v7, v9, vcc
	v_mul_lo_u32 v8, s0, v7
	v_mul_hi_u32 v9, s0, v4
	v_mul_lo_u32 v10, s1, v4
	v_mul_lo_u32 v11, s0, v4
	v_add_u32_e32 v8, v9, v8
	v_add_u32_e32 v8, v8, v10
	v_mul_lo_u32 v12, v4, v8
	v_mul_hi_u32 v13, v4, v11
	v_mul_hi_u32 v14, v4, v8
	v_mul_hi_u32 v10, v7, v11
	v_mul_lo_u32 v11, v7, v11
	v_mul_hi_u32 v9, v7, v8
	v_add_co_u32_e32 v12, vcc, v13, v12
	v_addc_co_u32_e32 v13, vcc, 0, v14, vcc
	v_mul_lo_u32 v8, v7, v8
	v_add_co_u32_e32 v11, vcc, v12, v11
	v_addc_co_u32_e32 v10, vcc, v13, v10, vcc
	v_addc_co_u32_e32 v9, vcc, 0, v9, vcc
	v_add_co_u32_e32 v8, vcc, v10, v8
	v_addc_co_u32_e32 v9, vcc, 0, v9, vcc
	v_add_co_u32_e32 v4, vcc, v4, v8
	v_addc_co_u32_e32 v9, vcc, v7, v9, vcc
	v_mad_u64_u32 v[7:8], s[0:1], v5, v9, 0
	v_mul_hi_u32 v10, v5, v4
	v_add_co_u32_e32 v11, vcc, v10, v7
	v_addc_co_u32_e32 v12, vcc, 0, v8, vcc
	v_mad_u64_u32 v[7:8], s[0:1], v6, v4, 0
	v_mad_u64_u32 v[9:10], s[0:1], v6, v9, 0
	v_add_co_u32_e32 v4, vcc, v11, v7
	v_addc_co_u32_e32 v4, vcc, v12, v8, vcc
	v_addc_co_u32_e32 v7, vcc, 0, v10, vcc
	v_add_co_u32_e32 v4, vcc, v4, v9
	v_addc_co_u32_e32 v9, vcc, 0, v7, vcc
	v_mul_lo_u32 v10, s25, v4
	v_mul_lo_u32 v11, s24, v9
	v_mad_u64_u32 v[7:8], s[0:1], s24, v4, 0
	v_add3_u32 v8, v8, v11, v10
	v_sub_u32_e32 v10, v6, v8
	v_mov_b32_e32 v11, s25
	v_sub_co_u32_e32 v7, vcc, v5, v7
	v_subb_co_u32_e64 v10, s[0:1], v10, v11, vcc
	v_subrev_co_u32_e64 v11, s[0:1], s24, v7
	v_subbrev_co_u32_e64 v10, s[0:1], 0, v10, s[0:1]
	v_cmp_le_u32_e64 s[0:1], s25, v10
	v_cndmask_b32_e64 v12, 0, -1, s[0:1]
	v_cmp_le_u32_e64 s[0:1], s24, v11
	v_cndmask_b32_e64 v11, 0, -1, s[0:1]
	v_cmp_eq_u32_e64 s[0:1], s25, v10
	v_cndmask_b32_e64 v10, v12, v11, s[0:1]
	v_add_co_u32_e64 v11, s[0:1], 2, v4
	v_addc_co_u32_e64 v12, s[0:1], 0, v9, s[0:1]
	v_add_co_u32_e64 v13, s[0:1], 1, v4
	v_addc_co_u32_e64 v14, s[0:1], 0, v9, s[0:1]
	v_subb_co_u32_e32 v8, vcc, v6, v8, vcc
	v_cmp_ne_u32_e64 s[0:1], 0, v10
	v_cmp_le_u32_e32 vcc, s25, v8
	v_cndmask_b32_e64 v10, v14, v12, s[0:1]
	v_cndmask_b32_e64 v12, 0, -1, vcc
	v_cmp_le_u32_e32 vcc, s24, v7
	v_cndmask_b32_e64 v7, 0, -1, vcc
	v_cmp_eq_u32_e32 vcc, s25, v8
	v_cndmask_b32_e32 v7, v12, v7, vcc
	v_cmp_ne_u32_e32 vcc, 0, v7
	v_cndmask_b32_e64 v7, v13, v11, s[0:1]
	v_cndmask_b32_e32 v157, v9, v10, vcc
	v_cndmask_b32_e32 v156, v4, v7, vcc
.LBB0_4:                                ;   in Loop: Header=BB0_2 Depth=1
	s_andn2_saveexec_b64 s[0:1], s[26:27]
	s_cbranch_execz .LBB0_6
; %bb.5:                                ;   in Loop: Header=BB0_2 Depth=1
	v_cvt_f32_u32_e32 v4, s24
	s_sub_i32 s26, 0, s24
	v_mov_b32_e32 v157, v3
	v_rcp_iflag_f32_e32 v4, v4
	v_mul_f32_e32 v4, 0x4f7ffffe, v4
	v_cvt_u32_f32_e32 v4, v4
	v_mul_lo_u32 v7, s26, v4
	v_mul_hi_u32 v7, v4, v7
	v_add_u32_e32 v4, v4, v7
	v_mul_hi_u32 v4, v5, v4
	v_mul_lo_u32 v7, v4, s24
	v_add_u32_e32 v8, 1, v4
	v_sub_u32_e32 v7, v5, v7
	v_subrev_u32_e32 v9, s24, v7
	v_cmp_le_u32_e32 vcc, s24, v7
	v_cndmask_b32_e32 v7, v7, v9, vcc
	v_cndmask_b32_e32 v4, v4, v8, vcc
	v_add_u32_e32 v8, 1, v4
	v_cmp_le_u32_e32 vcc, s24, v7
	v_cndmask_b32_e32 v156, v4, v8, vcc
.LBB0_6:                                ;   in Loop: Header=BB0_2 Depth=1
	s_or_b64 exec, exec, s[0:1]
	v_mul_lo_u32 v4, v157, s24
	v_mul_lo_u32 v9, v156, s25
	v_mad_u64_u32 v[7:8], s[0:1], v156, s24, 0
	s_load_dwordx2 s[0:1], s[6:7], 0x0
	s_load_dwordx2 s[24:25], s[2:3], 0x0
	v_add3_u32 v4, v8, v9, v4
	v_sub_co_u32_e32 v5, vcc, v5, v7
	v_subb_co_u32_e32 v4, vcc, v6, v4, vcc
	s_waitcnt lgkmcnt(0)
	v_mul_lo_u32 v6, s0, v4
	v_mul_lo_u32 v7, s1, v5
	v_mad_u64_u32 v[1:2], s[0:1], s0, v5, v[1:2]
	v_mul_lo_u32 v4, s24, v4
	v_mul_lo_u32 v8, s25, v5
	v_mad_u64_u32 v[152:153], s[0:1], s24, v5, v[152:153]
	s_add_u32 s22, s22, 1
	s_addc_u32 s23, s23, 0
	s_add_u32 s2, s2, 8
	v_add3_u32 v153, v8, v153, v4
	s_addc_u32 s3, s3, 0
	v_mov_b32_e32 v4, s14
	s_add_u32 s6, s6, 8
	v_mov_b32_e32 v5, s15
	s_addc_u32 s7, s7, 0
	v_cmp_ge_u64_e32 vcc, s[22:23], v[4:5]
	s_add_u32 s20, s20, 8
	v_add3_u32 v2, v7, v2, v6
	s_addc_u32 s21, s21, 0
	s_cbranch_vccnz .LBB0_9
; %bb.7:                                ;   in Loop: Header=BB0_2 Depth=1
	v_mov_b32_e32 v5, v156
	v_mov_b32_e32 v6, v157
	s_branch .LBB0_2
.LBB0_8:
	v_mov_b32_e32 v153, v2
	v_mov_b32_e32 v157, v6
	;; [unrolled: 1-line block ×4, first 2 shown]
.LBB0_9:
	s_load_dwordx2 s[2:3], s[4:5], 0x28
	s_lshl_b64 s[6:7], s[14:15], 3
	s_add_u32 s4, s18, s6
	s_addc_u32 s5, s19, s7
                                        ; implicit-def: $vgpr154
	s_waitcnt lgkmcnt(0)
	v_cmp_gt_u64_e64 s[0:1], s[2:3], v[156:157]
	v_cmp_le_u64_e32 vcc, s[2:3], v[156:157]
	s_and_saveexec_b64 s[2:3], vcc
	s_xor_b64 s[2:3], exec, s[2:3]
; %bb.10:
	s_mov_b32 s14, 0x4ec4ec5
	v_mul_hi_u32 v1, v0, s14
	v_mul_u32_u24_e32 v1, 52, v1
	v_sub_u32_e32 v154, v0, v1
                                        ; implicit-def: $vgpr0
                                        ; implicit-def: $vgpr1_vgpr2
; %bb.11:
	s_or_saveexec_b64 s[2:3], s[2:3]
	s_load_dwordx2 s[4:5], s[4:5], 0x0
	s_xor_b64 exec, exec, s[2:3]
	s_cbranch_execz .LBB0_15
; %bb.12:
	s_add_u32 s6, s16, s6
	s_addc_u32 s7, s17, s7
	s_load_dwordx2 s[6:7], s[6:7], 0x0
	s_mov_b32 s14, 0x4ec4ec5
	v_mul_hi_u32 v5, v0, s14
	v_lshlrev_b64 v[1:2], 4, v[1:2]
	s_waitcnt lgkmcnt(0)
	v_mul_lo_u32 v6, s7, v156
	v_mul_lo_u32 v7, s6, v157
	v_mad_u64_u32 v[3:4], s[6:7], s6, v156, 0
	v_mul_u32_u24_e32 v5, 52, v5
	v_sub_u32_e32 v154, v0, v5
	v_add3_u32 v4, v4, v7, v6
	v_lshlrev_b64 v[3:4], 4, v[3:4]
	v_mov_b32_e32 v0, s9
	v_add_co_u32_e32 v3, vcc, s8, v3
	v_addc_co_u32_e32 v0, vcc, v0, v4, vcc
	v_add_co_u32_e32 v1, vcc, v3, v1
	v_addc_co_u32_e32 v0, vcc, v0, v2, vcc
	v_lshlrev_b32_e32 v110, 4, v154
	v_add_co_u32_e32 v98, vcc, v1, v110
	v_addc_co_u32_e32 v99, vcc, 0, v0, vcc
	s_movk_i32 s6, 0x1000
	v_add_co_u32_e32 v50, vcc, s6, v98
	v_or_b32_e32 v26, 0x3400, v110
	v_addc_co_u32_e32 v51, vcc, 0, v99, vcc
	v_add_co_u32_e32 v52, vcc, v1, v26
	s_movk_i32 s7, 0x3000
	v_addc_co_u32_e32 v53, vcc, 0, v0, vcc
	v_add_co_u32_e32 v82, vcc, s7, v98
	v_addc_co_u32_e32 v83, vcc, 0, v99, vcc
	s_movk_i32 s6, 0x2000
	v_add_co_u32_e32 v84, vcc, s6, v98
	v_addc_co_u32_e32 v85, vcc, 0, v99, vcc
	s_movk_i32 s6, 0x4000
	v_add_co_u32_e32 v106, vcc, s6, v98
	v_addc_co_u32_e32 v107, vcc, 0, v99, vcc
	v_add_co_u32_e32 v108, vcc, 0x5000, v98
	global_load_dwordx4 v[2:5], v[98:99], off
	global_load_dwordx4 v[6:9], v[98:99], off offset:832
	global_load_dwordx4 v[10:13], v[98:99], off offset:1664
	;; [unrolled: 1-line block ×5, first 2 shown]
	global_load_dwordx4 v[26:29], v[52:53], off
	global_load_dwordx4 v[30:33], v[82:83], off offset:3520
	global_load_dwordx4 v[34:37], v[50:51], off offset:896
	;; [unrolled: 1-line block ×5, first 2 shown]
	s_nop 0
	global_load_dwordx4 v[50:53], v[84:85], off offset:128
	global_load_dwordx4 v[54:57], v[84:85], off offset:960
	global_load_dwordx4 v[58:61], v[84:85], off offset:1792
	global_load_dwordx4 v[62:65], v[84:85], off offset:2624
	global_load_dwordx4 v[66:69], v[84:85], off offset:3456
	global_load_dwordx4 v[70:73], v[82:83], off offset:192
	global_load_dwordx4 v[74:77], v[82:83], off offset:1856
	global_load_dwordx4 v[78:81], v[82:83], off offset:2688
	s_nop 0
	global_load_dwordx4 v[82:85], v[106:107], off offset:256
	global_load_dwordx4 v[86:89], v[106:107], off offset:1088
	;; [unrolled: 1-line block ×4, first 2 shown]
	v_addc_co_u32_e32 v109, vcc, 0, v99, vcc
	global_load_dwordx4 v[98:101], v[106:107], off offset:3584
	global_load_dwordx4 v[102:105], v[108:109], off offset:320
	v_add_u32_e32 v106, 0, v110
	v_cmp_eq_u32_e32 vcc, 51, v154
	s_waitcnt vmcnt(25)
	ds_write_b128 v106, v[2:5]
	s_waitcnt vmcnt(24)
	ds_write_b128 v106, v[6:9] offset:832
	s_waitcnt vmcnt(23)
	ds_write_b128 v106, v[10:13] offset:1664
	;; [unrolled: 2-line block ×5, first 2 shown]
	ds_write_b128 v106, v[22:25] offset:4160
	s_waitcnt vmcnt(17)
	ds_write_b128 v106, v[34:37] offset:4992
	s_waitcnt vmcnt(16)
	ds_write_b128 v106, v[38:41] offset:5824
	s_waitcnt vmcnt(15)
	ds_write_b128 v106, v[42:45] offset:6656
	s_waitcnt vmcnt(14)
	ds_write_b128 v106, v[46:49] offset:7488
	s_waitcnt vmcnt(13)
	ds_write_b128 v106, v[50:53] offset:8320
	s_waitcnt vmcnt(12)
	ds_write_b128 v106, v[54:57] offset:9152
	s_waitcnt vmcnt(11)
	ds_write_b128 v106, v[58:61] offset:9984
	s_waitcnt vmcnt(10)
	ds_write_b128 v106, v[62:65] offset:10816
	s_waitcnt vmcnt(9)
	ds_write_b128 v106, v[66:69] offset:11648
	s_waitcnt vmcnt(8)
	ds_write_b128 v106, v[70:73] offset:12480
	s_waitcnt vmcnt(7)
	ds_write_b128 v106, v[74:77] offset:14144
	s_waitcnt vmcnt(6)
	ds_write_b128 v106, v[78:81] offset:14976
	ds_write_b128 v106, v[30:33] offset:15808
	s_waitcnt vmcnt(5)
	ds_write_b128 v106, v[82:85] offset:16640
	s_waitcnt vmcnt(4)
	;; [unrolled: 2-line block ×6, first 2 shown]
	ds_write_b128 v106, v[102:105] offset:20800
	s_and_saveexec_b64 s[6:7], vcc
	s_cbranch_execz .LBB0_14
; %bb.13:
	v_add_co_u32_e32 v1, vcc, 0x5000, v1
	v_addc_co_u32_e32 v2, vcc, 0, v0, vcc
	global_load_dwordx4 v[0:3], v[1:2], off offset:1152
	v_mov_b32_e32 v4, 0
	v_mov_b32_e32 v154, 51
	s_waitcnt vmcnt(0)
	ds_write_b128 v4, v[0:3] offset:21632
.LBB0_14:
	s_or_b64 exec, exec, s[6:7]
.LBB0_15:
	s_or_b64 exec, exec, s[2:3]
	v_lshlrev_b32_e32 v0, 4, v154
	v_add_u32_e32 v164, 0, v0
	s_waitcnt lgkmcnt(0)
	; wave barrier
	s_waitcnt lgkmcnt(0)
	v_sub_u32_e32 v10, 0, v0
	ds_read_b64 v[6:7], v164
	ds_read_b64 v[8:9], v10 offset:21632
	s_add_u32 s6, s12, 0x5460
	s_addc_u32 s7, s13, 0
	v_cmp_ne_u32_e32 vcc, 0, v154
                                        ; implicit-def: $vgpr4_vgpr5
	s_waitcnt lgkmcnt(0)
	v_add_f64 v[0:1], v[6:7], v[8:9]
	v_add_f64 v[2:3], v[6:7], -v[8:9]
	s_and_saveexec_b64 s[2:3], vcc
	s_xor_b64 s[2:3], exec, s[2:3]
	s_cbranch_execz .LBB0_17
; %bb.16:
	v_mov_b32_e32 v155, 0
	v_lshlrev_b64 v[0:1], 4, v[154:155]
	v_mov_b32_e32 v2, s7
	v_add_co_u32_e32 v0, vcc, s6, v0
	v_addc_co_u32_e32 v1, vcc, v2, v1, vcc
	global_load_dwordx4 v[2:5], v[0:1], off
	ds_read_b64 v[0:1], v10 offset:21640
	ds_read_b64 v[11:12], v164 offset:8
	v_add_f64 v[13:14], v[6:7], v[8:9]
	v_add_f64 v[8:9], v[6:7], -v[8:9]
	s_waitcnt lgkmcnt(0)
	v_add_f64 v[15:16], v[0:1], v[11:12]
	v_add_f64 v[0:1], v[11:12], -v[0:1]
	s_waitcnt vmcnt(0)
	v_fma_f64 v[6:7], -v[8:9], v[4:5], v[13:14]
	v_fma_f64 v[11:12], v[15:16], v[4:5], -v[0:1]
	v_fma_f64 v[13:14], v[8:9], v[4:5], v[13:14]
	v_fma_f64 v[17:18], v[15:16], v[4:5], v[0:1]
	;; [unrolled: 1-line block ×4, first 2 shown]
	v_fma_f64 v[0:1], -v[15:16], v[2:3], v[13:14]
	v_fma_f64 v[2:3], v[8:9], v[2:3], v[17:18]
	ds_write_b128 v10, v[4:7] offset:21632
	v_mov_b32_e32 v4, v154
	v_mov_b32_e32 v5, v155
.LBB0_17:
	s_andn2_saveexec_b64 s[2:3], s[2:3]
	s_cbranch_execz .LBB0_19
; %bb.18:
	v_mov_b32_e32 v8, 0
	ds_read_b128 v[4:7], v8 offset:10816
	s_waitcnt lgkmcnt(0)
	v_add_f64 v[11:12], v[4:5], v[4:5]
	v_mul_f64 v[13:14], v[6:7], -2.0
	v_mov_b32_e32 v4, 0
	v_mov_b32_e32 v5, 0
	ds_write_b128 v8, v[11:14] offset:10816
.LBB0_19:
	s_or_b64 exec, exec, s[2:3]
	v_lshlrev_b64 v[4:5], 4, v[4:5]
	v_mov_b32_e32 v6, s7
	v_add_co_u32_e32 v4, vcc, s6, v4
	v_addc_co_u32_e32 v5, vcc, v6, v5, vcc
	global_load_dwordx4 v[6:9], v[4:5], off offset:832
	global_load_dwordx4 v[11:14], v[4:5], off offset:1664
	ds_write_b128 v164, v[0:3]
	ds_read_b128 v[0:3], v164 offset:832
	ds_read_b128 v[15:18], v10 offset:20800
	global_load_dwordx4 v[19:22], v[4:5], off offset:2496
	s_movk_i32 s33, 0x1000
	s_movk_i32 s48, 0x2000
	v_and_b32_e32 v159, 1, v154
	s_waitcnt lgkmcnt(0)
	v_add_f64 v[23:24], v[0:1], v[15:16]
	v_add_f64 v[25:26], v[17:18], v[2:3]
	v_add_f64 v[27:28], v[0:1], -v[15:16]
	v_add_f64 v[0:1], v[2:3], -v[17:18]
	v_add_u32_e32 v158, 52, v154
	v_add_u32_e32 v155, 0x138, v154
	v_lshl_add_u32 v106, v158, 5, 0
	v_lshl_add_u32 v105, v154, 5, 0
	;; [unrolled: 1-line block ×3, first 2 shown]
	s_mov_b32 s18, 0x4267c47c
	s_mov_b32 s6, 0xe00740e9
	;; [unrolled: 1-line block ×36, first 2 shown]
	s_waitcnt vmcnt(2)
	v_fma_f64 v[2:3], v[27:28], v[8:9], v[23:24]
	v_fma_f64 v[15:16], v[25:26], v[8:9], v[0:1]
	v_fma_f64 v[17:18], -v[27:28], v[8:9], v[23:24]
	v_fma_f64 v[8:9], v[25:26], v[8:9], -v[0:1]
	v_fma_f64 v[0:1], -v[25:26], v[6:7], v[2:3]
	v_fma_f64 v[2:3], v[27:28], v[6:7], v[15:16]
	v_fma_f64 v[15:16], v[25:26], v[6:7], v[17:18]
	;; [unrolled: 1-line block ×3, first 2 shown]
	ds_write_b128 v164, v[0:3] offset:832
	ds_write_b128 v10, v[15:18] offset:20800
	ds_read_b128 v[0:3], v164 offset:1664
	ds_read_b128 v[6:9], v10 offset:19968
	global_load_dwordx4 v[15:18], v[4:5], off offset:3328
	s_waitcnt lgkmcnt(0)
	v_add_f64 v[23:24], v[0:1], v[6:7]
	v_add_f64 v[25:26], v[8:9], v[2:3]
	v_add_f64 v[27:28], v[0:1], -v[6:7]
	v_add_f64 v[0:1], v[2:3], -v[8:9]
	s_waitcnt vmcnt(2)
	v_fma_f64 v[2:3], v[27:28], v[13:14], v[23:24]
	v_fma_f64 v[6:7], v[25:26], v[13:14], v[0:1]
	v_fma_f64 v[8:9], -v[27:28], v[13:14], v[23:24]
	v_fma_f64 v[13:14], v[25:26], v[13:14], -v[0:1]
	v_add_co_u32_e32 v23, vcc, s33, v4
	v_addc_co_u32_e32 v24, vcc, 0, v5, vcc
	v_fma_f64 v[0:1], -v[25:26], v[11:12], v[2:3]
	v_fma_f64 v[2:3], v[27:28], v[11:12], v[6:7]
	v_fma_f64 v[6:7], v[25:26], v[11:12], v[8:9]
	v_fma_f64 v[8:9], v[27:28], v[11:12], v[13:14]
	ds_write_b128 v164, v[0:3] offset:1664
	ds_write_b128 v10, v[6:9] offset:19968
	ds_read_b128 v[0:3], v164 offset:2496
	ds_read_b128 v[6:9], v10 offset:19136
	global_load_dwordx4 v[11:14], v[23:24], off offset:64
	s_waitcnt lgkmcnt(0)
	v_add_f64 v[25:26], v[0:1], v[6:7]
	v_add_f64 v[27:28], v[8:9], v[2:3]
	v_add_f64 v[29:30], v[0:1], -v[6:7]
	v_add_f64 v[0:1], v[2:3], -v[8:9]
	s_waitcnt vmcnt(2)
	v_fma_f64 v[2:3], v[29:30], v[21:22], v[25:26]
	v_fma_f64 v[6:7], v[27:28], v[21:22], v[0:1]
	v_fma_f64 v[8:9], -v[29:30], v[21:22], v[25:26]
	v_fma_f64 v[21:22], v[27:28], v[21:22], -v[0:1]
	v_fma_f64 v[0:1], -v[27:28], v[19:20], v[2:3]
	v_fma_f64 v[2:3], v[29:30], v[19:20], v[6:7]
	v_fma_f64 v[6:7], v[27:28], v[19:20], v[8:9]
	v_fma_f64 v[8:9], v[29:30], v[19:20], v[21:22]
	ds_write_b128 v164, v[0:3] offset:2496
	ds_write_b128 v10, v[6:9] offset:19136
	ds_read_b128 v[0:3], v164 offset:3328
	ds_read_b128 v[6:9], v10 offset:18304
	global_load_dwordx4 v[19:22], v[23:24], off offset:896
	s_waitcnt lgkmcnt(0)
	v_add_f64 v[25:26], v[0:1], v[6:7]
	v_add_f64 v[27:28], v[8:9], v[2:3]
	v_add_f64 v[29:30], v[0:1], -v[6:7]
	v_add_f64 v[0:1], v[2:3], -v[8:9]
	s_waitcnt vmcnt(2)
	v_fma_f64 v[2:3], v[29:30], v[17:18], v[25:26]
	v_fma_f64 v[6:7], v[27:28], v[17:18], v[0:1]
	v_fma_f64 v[8:9], -v[29:30], v[17:18], v[25:26]
	v_fma_f64 v[17:18], v[27:28], v[17:18], -v[0:1]
	;; [unrolled: 19-line block ×5, first 2 shown]
	v_add_co_u32_e32 v23, vcc, s48, v4
	v_addc_co_u32_e32 v24, vcc, 0, v5, vcc
	v_fma_f64 v[0:1], -v[25:26], v[15:16], v[2:3]
	v_fma_f64 v[2:3], v[27:28], v[15:16], v[6:7]
	v_fma_f64 v[6:7], v[25:26], v[15:16], v[8:9]
	;; [unrolled: 1-line block ×3, first 2 shown]
	ds_write_b128 v164, v[0:3] offset:5824
	ds_write_b128 v10, v[6:9] offset:15808
	ds_read_b128 v[0:3], v164 offset:6656
	ds_read_b128 v[6:9], v10 offset:14976
	global_load_dwordx4 v[15:18], v[23:24], off offset:128
	v_cmp_gt_u32_e32 vcc, 26, v154
	s_waitcnt lgkmcnt(0)
	v_add_f64 v[4:5], v[0:1], v[6:7]
	v_add_f64 v[25:26], v[8:9], v[2:3]
	v_add_f64 v[6:7], v[0:1], -v[6:7]
	v_add_f64 v[0:1], v[2:3], -v[8:9]
	s_waitcnt vmcnt(2)
	v_fma_f64 v[2:3], v[6:7], v[13:14], v[4:5]
	v_fma_f64 v[8:9], v[25:26], v[13:14], v[0:1]
	v_fma_f64 v[4:5], -v[6:7], v[13:14], v[4:5]
	v_fma_f64 v[13:14], v[25:26], v[13:14], -v[0:1]
	v_fma_f64 v[0:1], -v[25:26], v[11:12], v[2:3]
	v_fma_f64 v[2:3], v[6:7], v[11:12], v[8:9]
	v_fma_f64 v[4:5], v[25:26], v[11:12], v[4:5]
	;; [unrolled: 1-line block ×3, first 2 shown]
	ds_write_b128 v164, v[0:3] offset:6656
	ds_write_b128 v10, v[4:7] offset:14976
	ds_read_b128 v[0:3], v164 offset:7488
	ds_read_b128 v[4:7], v10 offset:14144
	global_load_dwordx4 v[11:14], v[23:24], off offset:960
	s_waitcnt lgkmcnt(0)
	v_add_f64 v[8:9], v[0:1], v[4:5]
	v_add_f64 v[25:26], v[6:7], v[2:3]
	v_add_f64 v[27:28], v[0:1], -v[4:5]
	v_add_f64 v[0:1], v[2:3], -v[6:7]
	s_waitcnt vmcnt(2)
	v_fma_f64 v[2:3], v[27:28], v[21:22], v[8:9]
	v_fma_f64 v[4:5], v[25:26], v[21:22], v[0:1]
	v_fma_f64 v[6:7], -v[27:28], v[21:22], v[8:9]
	v_fma_f64 v[8:9], v[25:26], v[21:22], -v[0:1]
	v_fma_f64 v[0:1], -v[25:26], v[19:20], v[2:3]
	v_fma_f64 v[2:3], v[27:28], v[19:20], v[4:5]
	v_fma_f64 v[4:5], v[25:26], v[19:20], v[6:7]
	;; [unrolled: 1-line block ×3, first 2 shown]
	ds_write_b128 v164, v[0:3] offset:7488
	ds_write_b128 v10, v[4:7] offset:14144
	ds_read_b128 v[4:7], v164 offset:8320
	ds_read_b128 v[19:22], v10 offset:13312
	global_load_dwordx4 v[0:3], v[23:24], off offset:1792
	s_waitcnt lgkmcnt(0)
	v_add_f64 v[8:9], v[4:5], v[19:20]
	v_add_f64 v[23:24], v[21:22], v[6:7]
	v_add_f64 v[19:20], v[4:5], -v[19:20]
	v_add_f64 v[4:5], v[6:7], -v[21:22]
	s_waitcnt vmcnt(2)
	v_fma_f64 v[6:7], v[19:20], v[17:18], v[8:9]
	v_fma_f64 v[21:22], v[23:24], v[17:18], v[4:5]
	v_fma_f64 v[8:9], -v[19:20], v[17:18], v[8:9]
	v_fma_f64 v[25:26], v[23:24], v[17:18], -v[4:5]
	v_fma_f64 v[4:5], -v[23:24], v[15:16], v[6:7]
	v_fma_f64 v[6:7], v[19:20], v[15:16], v[21:22]
	v_fma_f64 v[17:18], v[23:24], v[15:16], v[8:9]
	;; [unrolled: 1-line block ×3, first 2 shown]
	ds_write_b128 v164, v[4:7] offset:8320
	ds_write_b128 v10, v[17:20] offset:13312
	ds_read_b128 v[4:7], v164 offset:9152
	ds_read_b128 v[15:18], v10 offset:12480
	s_waitcnt lgkmcnt(0)
	v_add_f64 v[8:9], v[4:5], v[15:16]
	v_add_f64 v[19:20], v[17:18], v[6:7]
	v_add_f64 v[15:16], v[4:5], -v[15:16]
	v_add_f64 v[4:5], v[6:7], -v[17:18]
	s_waitcnt vmcnt(1)
	v_fma_f64 v[6:7], v[15:16], v[13:14], v[8:9]
	v_fma_f64 v[17:18], v[19:20], v[13:14], v[4:5]
	v_fma_f64 v[8:9], -v[15:16], v[13:14], v[8:9]
	v_fma_f64 v[21:22], v[19:20], v[13:14], -v[4:5]
	v_fma_f64 v[4:5], -v[19:20], v[11:12], v[6:7]
	v_fma_f64 v[6:7], v[15:16], v[11:12], v[17:18]
	v_fma_f64 v[13:14], v[19:20], v[11:12], v[8:9]
	v_fma_f64 v[15:16], v[15:16], v[11:12], v[21:22]
	ds_write_b128 v164, v[4:7] offset:9152
	ds_write_b128 v10, v[13:16] offset:12480
	ds_read_b128 v[4:7], v164 offset:9984
	ds_read_b128 v[11:14], v10 offset:11648
	s_waitcnt lgkmcnt(0)
	v_add_f64 v[8:9], v[4:5], v[11:12]
	v_add_f64 v[15:16], v[13:14], v[6:7]
	v_add_f64 v[17:18], v[4:5], -v[11:12]
	v_add_f64 v[4:5], v[6:7], -v[13:14]
	s_waitcnt vmcnt(0)
	v_fma_f64 v[6:7], v[17:18], v[2:3], v[8:9]
	v_fma_f64 v[11:12], v[15:16], v[2:3], v[4:5]
	v_fma_f64 v[13:14], -v[17:18], v[2:3], v[8:9]
	v_fma_f64 v[2:3], v[15:16], v[2:3], -v[4:5]
	v_fma_f64 v[5:6], -v[15:16], v[0:1], v[6:7]
	v_fma_f64 v[7:8], v[17:18], v[0:1], v[11:12]
	v_fma_f64 v[11:12], v[15:16], v[0:1], v[13:14]
	;; [unrolled: 1-line block ×3, first 2 shown]
	v_mul_u32_u24_e32 v0, 12, v159
	v_lshlrev_b32_e32 v4, 4, v0
	ds_write_b128 v164, v[5:8] offset:9984
	ds_write_b128 v10, v[11:14] offset:11648
	s_waitcnt lgkmcnt(0)
	; wave barrier
	s_waitcnt lgkmcnt(0)
	s_waitcnt lgkmcnt(0)
	; wave barrier
	s_waitcnt lgkmcnt(0)
	ds_read_b128 v[0:3], v164 offset:11648
	ds_read_b128 v[5:8], v164 offset:12480
	;; [unrolled: 1-line block ×3, first 2 shown]
	ds_read_b128 v[13:16], v164
	ds_read_b128 v[17:20], v164 offset:1664
	ds_read_b128 v[21:24], v164 offset:2496
	;; [unrolled: 1-line block ×22, first 2 shown]
	s_waitcnt lgkmcnt(14)
	v_add_f64 v[0:1], v[9:10], -v[0:1]
	v_add_f64 v[2:3], v[11:12], -v[2:3]
	s_waitcnt lgkmcnt(13)
	v_add_f64 v[45:46], v[49:50], -v[45:46]
	v_add_f64 v[47:48], v[51:52], -v[47:48]
	;; [unrolled: 3-line block ×3, first 2 shown]
	v_add_f64 v[5:6], v[17:18], -v[5:6]
	v_add_f64 v[7:8], v[19:20], -v[7:8]
	;; [unrolled: 1-line block ×16, first 2 shown]
	s_waitcnt lgkmcnt(1)
	v_add_f64 v[97:98], v[85:86], -v[97:98]
	v_add_f64 v[99:100], v[87:88], -v[99:100]
	s_waitcnt lgkmcnt(0)
	v_add_f64 v[101:102], v[93:94], -v[101:102]
	v_add_f64 v[103:104], v[95:96], -v[103:104]
	s_waitcnt lgkmcnt(0)
	; wave barrier
	v_fma_f64 v[9:10], v[9:10], 2.0, -v[0:1]
	v_fma_f64 v[11:12], v[11:12], 2.0, -v[2:3]
	ds_write_b128 v106, v[0:3] offset:16
	v_fma_f64 v[0:1], v[49:50], 2.0, -v[45:46]
	v_fma_f64 v[2:3], v[51:52], 2.0, -v[47:48]
	v_fma_f64 v[13:14], v[13:14], 2.0, -v[89:90]
	v_fma_f64 v[15:16], v[15:16], 2.0, -v[91:92]
	ds_write_b128 v107, v[45:48] offset:16
	v_fma_f64 v[17:18], v[17:18], 2.0, -v[5:6]
	v_fma_f64 v[19:20], v[19:20], 2.0, -v[7:8]
	;; [unrolled: 1-line block ×20, first 2 shown]
	ds_write_b128 v105, v[89:92] offset:16
	ds_write_b128 v105, v[5:8] offset:3344
	ds_write_b128 v105, v[25:28] offset:5008
	ds_write_b128 v105, v[29:32] offset:6672
	ds_write_b128 v105, v[41:44] offset:8336
	ds_write_b128 v105, v[57:60] offset:11664
	ds_write_b128 v105, v[61:64] offset:13328
	ds_write_b128 v105, v[73:76] offset:14992
	ds_write_b128 v105, v[77:80] offset:16656
	ds_write_b128 v105, v[97:100] offset:18320
	ds_write_b128 v105, v[101:104] offset:19984
	ds_write_b128 v106, v[9:12]
	ds_write_b128 v107, v[0:3]
	ds_write_b128 v105, v[13:16]
	ds_write_b128 v105, v[17:20] offset:3328
	ds_write_b128 v105, v[21:24] offset:4992
	;; [unrolled: 1-line block ×10, first 2 shown]
	s_waitcnt lgkmcnt(0)
	; wave barrier
	s_waitcnt lgkmcnt(0)
	global_load_dwordx4 v[0:3], v4, s[12:13]
	global_load_dwordx4 v[8:11], v4, s[12:13] offset:16
	global_load_dwordx4 v[12:15], v4, s[12:13] offset:32
	;; [unrolled: 1-line block ×11, first 2 shown]
	ds_read_b128 v[148:151], v164 offset:1664
	ds_read_b128 v[144:147], v164 offset:2496
	;; [unrolled: 1-line block ×24, first 2 shown]
	ds_read_b128 v[40:43], v164
	ds_read_b128 v[4:7], v164 offset:832
	s_waitcnt lgkmcnt(0)
	; wave barrier
	s_waitcnt vmcnt(11) lgkmcnt(0)
	v_mul_f64 v[160:161], v[150:151], v[2:3]
	v_mul_f64 v[162:163], v[148:149], v[2:3]
	v_mul_f64 v[165:166], v[146:147], v[2:3]
	v_mul_f64 v[2:3], v[144:145], v[2:3]
	s_waitcnt vmcnt(10)
	v_mul_f64 v[167:168], v[142:143], v[10:11]
	v_mul_f64 v[169:170], v[140:141], v[10:11]
	v_mul_f64 v[171:172], v[138:139], v[10:11]
	v_mul_f64 v[10:11], v[136:137], v[10:11]
	s_waitcnt vmcnt(9)
	v_mul_f64 v[173:174], v[134:135], v[14:15]
	v_mul_f64 v[175:176], v[132:133], v[14:15]
	v_mul_f64 v[177:178], v[130:131], v[14:15]
	v_mul_f64 v[14:15], v[128:129], v[14:15]
	s_waitcnt vmcnt(8)
	v_mul_f64 v[179:180], v[126:127], v[18:19]
	v_mul_f64 v[181:182], v[124:125], v[18:19]
	v_mul_f64 v[183:184], v[122:123], v[18:19]
	v_mul_f64 v[18:19], v[120:121], v[18:19]
	s_waitcnt vmcnt(7)
	v_mul_f64 v[185:186], v[118:119], v[22:23]
	v_mul_f64 v[187:188], v[116:117], v[22:23]
	v_mul_f64 v[189:190], v[114:115], v[22:23]
	v_mul_f64 v[22:23], v[112:113], v[22:23]
	s_waitcnt vmcnt(6)
	v_mul_f64 v[191:192], v[110:111], v[26:27]
	v_mul_f64 v[193:194], v[108:109], v[26:27]
	v_mul_f64 v[195:196], v[106:107], v[26:27]
	v_mul_f64 v[26:27], v[104:105], v[26:27]
	s_waitcnt vmcnt(5)
	v_mul_f64 v[197:198], v[102:103], v[30:31]
	v_mul_f64 v[199:200], v[100:101], v[30:31]
	s_waitcnt vmcnt(3)
	v_mul_f64 v[223:224], v[66:67], v[50:51]
	v_mul_f64 v[225:226], v[64:65], v[50:51]
	v_fma_f64 v[148:149], v[148:149], v[0:1], v[160:161]
	v_fma_f64 v[150:151], v[150:151], v[0:1], -v[162:163]
	v_mul_f64 v[201:202], v[98:99], v[30:31]
	v_mul_f64 v[30:31], v[96:97], v[30:31]
	s_waitcnt vmcnt(2)
	v_mul_f64 v[203:204], v[94:95], v[34:35]
	v_mul_f64 v[205:206], v[92:93], v[34:35]
	;; [unrolled: 1-line block ×4, first 2 shown]
	s_waitcnt vmcnt(1)
	v_mul_f64 v[209:210], v[86:87], v[38:39]
	v_mul_f64 v[215:216], v[74:75], v[46:47]
	;; [unrolled: 1-line block ×7, first 2 shown]
	s_waitcnt vmcnt(0)
	v_mul_f64 v[231:232], v[76:77], v[54:55]
	v_fma_f64 v[144:145], v[144:145], v[0:1], v[165:166]
	v_fma_f64 v[146:147], v[146:147], v[0:1], -v[2:3]
	v_fma_f64 v[0:1], v[140:141], v[8:9], v[167:168]
	v_fma_f64 v[2:3], v[142:143], v[8:9], -v[169:170]
	;; [unrolled: 2-line block ×13, first 2 shown]
	v_add_f64 v[116:117], v[40:41], v[148:149]
	v_add_f64 v[118:119], v[42:43], v[150:151]
	v_mul_f64 v[211:212], v[84:85], v[38:39]
	v_mul_f64 v[233:234], v[78:79], v[54:55]
	v_mul_f64 v[235:236], v[62:63], v[54:55]
	v_mul_f64 v[160:161], v[60:61], v[54:55]
	v_fma_f64 v[54:55], v[96:97], v[28:29], v[201:202]
	v_fma_f64 v[96:97], v[98:99], v[28:29], -v[30:31]
	v_fma_f64 v[28:29], v[92:93], v[32:33], v[203:204]
	v_fma_f64 v[30:31], v[94:95], v[32:33], -v[205:206]
	;; [unrolled: 2-line block ×4, first 2 shown]
	v_add_f64 v[84:85], v[0:1], v[100:101]
	v_add_f64 v[78:79], v[0:1], -v[100:101]
	v_add_f64 v[124:125], v[2:3], v[102:103]
	v_add_f64 v[126:127], v[2:3], -v[102:103]
	v_add_f64 v[0:1], v[116:117], v[0:1]
	v_add_f64 v[2:3], v[118:119], v[2:3]
	v_mul_f64 v[213:214], v[82:83], v[38:39]
	v_mul_f64 v[38:39], v[80:81], v[38:39]
	v_fma_f64 v[98:99], v[76:77], v[52:53], v[233:234]
	v_add_f64 v[104:105], v[150:151], -v[94:95]
	v_add_f64 v[108:109], v[150:151], v[94:95]
	v_fma_f64 v[34:35], v[86:87], v[36:37], -v[211:212]
	v_add_f64 v[0:1], v[0:1], v[8:9]
	v_add_f64 v[2:3], v[2:3], v[10:11]
	v_fma_f64 v[80:81], v[80:81], v[36:37], v[213:214]
	v_fma_f64 v[82:83], v[82:83], v[36:37], -v[38:39]
	v_fma_f64 v[36:37], v[72:73], v[44:45], v[215:216]
	v_fma_f64 v[38:39], v[74:75], v[44:45], -v[217:218]
	;; [unrolled: 2-line block ×3, first 2 shown]
	v_add_f64 v[0:1], v[0:1], v[12:13]
	v_add_f64 v[2:3], v[2:3], v[14:15]
	v_fma_f64 v[58:59], v[60:61], v[52:53], v[235:236]
	v_fma_f64 v[52:53], v[62:63], v[52:53], -v[160:161]
	v_add_f64 v[106:107], v[148:149], v[98:99]
	v_add_f64 v[110:111], v[148:149], -v[98:99]
	v_mul_f64 v[140:141], v[104:105], s[18:19]
	v_mul_f64 v[142:143], v[104:105], s[8:9]
	v_add_f64 v[0:1], v[0:1], v[16:17]
	v_add_f64 v[2:3], v[2:3], v[18:19]
	v_mul_f64 v[148:149], v[104:105], s[16:17]
	v_mul_f64 v[150:151], v[104:105], s[22:23]
	;; [unrolled: 1-line block ×5, first 2 shown]
	v_fma_f64 v[68:69], v[68:69], v[44:45], v[219:220]
	v_add_f64 v[0:1], v[0:1], v[20:21]
	v_add_f64 v[2:3], v[2:3], v[22:23]
	v_fma_f64 v[44:45], v[70:71], v[44:45], -v[221:222]
	v_add_f64 v[74:75], v[8:9], v[36:37]
	v_add_f64 v[70:71], v[8:9], -v[36:37]
	v_add_f64 v[134:135], v[10:11], v[38:39]
	v_add_f64 v[132:133], v[10:11], -v[38:39]
	v_mul_f64 v[165:166], v[108:109], s[14:15]
	v_add_f64 v[0:1], v[0:1], v[24:25]
	v_add_f64 v[2:3], v[2:3], v[26:27]
	v_mul_f64 v[167:168], v[108:109], s[20:21]
	v_mul_f64 v[169:170], v[108:109], s[24:25]
	;; [unrolled: 1-line block ×6, first 2 shown]
	v_fma_f64 v[181:182], v[106:107], s[6:7], v[140:141]
	v_fma_f64 v[140:141], v[106:107], s[6:7], -v[140:141]
	v_fma_f64 v[183:184], v[106:107], s[14:15], v[142:143]
	v_fma_f64 v[142:143], v[106:107], s[14:15], -v[142:143]
	;; [unrolled: 2-line block ×6, first 2 shown]
	v_fma_f64 v[106:107], v[110:111], s[38:39], v[162:163]
	v_add_f64 v[0:1], v[0:1], v[28:29]
	v_add_f64 v[2:3], v[2:3], v[30:31]
	v_add_f64 v[66:67], v[12:13], v[32:33]
	v_add_f64 v[64:65], v[12:13], -v[32:33]
	v_add_f64 v[86:87], v[14:15], v[34:35]
	v_add_f64 v[92:93], v[14:15], -v[34:35]
	v_add_f64 v[62:63], v[16:17], v[28:29]
	;; [unrolled: 2-line block ×3, first 2 shown]
	v_add_f64 v[76:77], v[18:19], -v[30:31]
	v_mul_f64 v[173:174], v[132:133], s[16:17]
	v_mul_f64 v[175:176], v[134:135], s[20:21]
	v_fma_f64 v[162:163], v[110:111], s[18:19], v[162:163]
	v_fma_f64 v[12:13], v[110:111], s[36:37], v[165:166]
	;; [unrolled: 1-line block ×13, first 2 shown]
	v_add_f64 v[181:182], v[40:41], v[181:182]
	v_add_f64 v[106:107], v[42:43], v[106:107]
	;; [unrolled: 1-line block ×4, first 2 shown]
	v_mul_f64 v[177:178], v[92:93], s[22:23]
	v_mul_f64 v[179:180], v[86:87], s[24:25]
	v_fma_f64 v[193:194], v[74:75], s[20:21], v[173:174]
	v_fma_f64 v[195:196], v[70:71], s[30:31], v[175:176]
	v_add_f64 v[201:202], v[42:43], v[12:13]
	v_add_f64 v[30:31], v[42:43], v[14:15]
	v_add_f64 v[12:13], v[108:109], v[181:182]
	v_add_f64 v[14:15], v[191:192], v[106:107]
	v_add_f64 v[0:1], v[0:1], v[36:37]
	v_add_f64 v[2:3], v[2:3], v[38:39]
	v_fma_f64 v[197:198], v[66:67], s[24:25], v[177:178]
	v_fma_f64 v[199:200], v[64:65], s[34:35], v[179:180]
	v_fma_f64 v[116:117], v[84:85], s[14:15], -v[116:117]
	v_fma_f64 v[118:119], v[78:79], s[8:9], v[118:119]
	v_add_f64 v[140:141], v[40:41], v[140:141]
	v_add_f64 v[162:163], v[42:43], v[162:163]
	;; [unrolled: 1-line block ×8, first 2 shown]
	v_mul_f64 v[12:13], v[76:77], s[26:27]
	v_mul_f64 v[14:15], v[72:73], s[28:29]
	v_add_f64 v[102:103], v[22:23], -v[26:27]
	v_add_f64 v[100:101], v[22:23], v[26:27]
	v_add_f64 v[183:184], v[40:41], v[183:184]
	;; [unrolled: 1-line block ×23, first 2 shown]
	v_fma_f64 v[22:23], v[74:75], s[20:21], -v[173:174]
	v_fma_f64 v[26:27], v[70:71], s[16:17], v[175:176]
	v_fma_f64 v[40:41], v[62:63], s[28:29], v[12:13]
	;; [unrolled: 1-line block ×3, first 2 shown]
	v_add_f64 v[94:95], v[20:21], v[24:25]
	v_add_f64 v[98:99], v[20:21], -v[24:25]
	v_mul_f64 v[20:21], v[102:103], s[44:45]
	v_mul_f64 v[24:25], v[100:101], s[42:43]
	v_add_f64 v[16:17], v[22:23], v[16:17]
	v_add_f64 v[18:19], v[26:27], v[18:19]
	v_fma_f64 v[22:23], v[66:67], s[24:25], -v[177:178]
	v_fma_f64 v[26:27], v[64:65], s[22:23], v[179:180]
	v_add_f64 v[8:9], v[40:41], v[8:9]
	v_add_f64 v[10:11], v[42:43], v[10:11]
	v_fma_f64 v[40:41], v[94:95], s[42:43], v[20:21]
	v_fma_f64 v[42:43], v[98:99], s[46:47], v[24:25]
	v_mul_f64 v[110:111], v[126:127], s[22:23]
	v_mul_f64 v[116:117], v[124:125], s[24:25]
	v_add_f64 v[16:17], v[22:23], v[16:17]
	v_add_f64 v[18:19], v[26:27], v[18:19]
	v_fma_f64 v[22:23], v[62:63], s[28:29], -v[12:13]
	v_fma_f64 v[26:27], v[60:61], s[26:27], v[14:15]
	v_add_f64 v[12:13], v[40:41], v[8:9]
	v_add_f64 v[14:15], v[42:43], v[10:11]
	v_fma_f64 v[8:9], v[84:85], s[24:25], v[110:111]
	v_fma_f64 v[10:11], v[78:79], s[34:35], v[116:117]
	;; [unrolled: 10-line block ×15, first 2 shown]
	v_mul_f64 v[150:151], v[102:103], s[36:37]
	v_mul_f64 v[162:163], v[100:101], s[14:15]
	v_add_f64 v[40:41], v[40:41], v[110:111]
	v_add_f64 v[42:43], v[42:43], v[116:117]
	v_fma_f64 v[110:111], v[66:67], s[20:21], -v[167:168]
	v_fma_f64 v[116:117], v[64:65], s[16:17], v[171:172]
	v_add_f64 v[32:33], v[118:119], v[32:33]
	v_add_f64 v[34:35], v[140:141], v[34:35]
	v_mul_f64 v[118:119], v[126:127], s[30:31]
	v_mul_f64 v[140:141], v[124:125], s[20:21]
	;; [unrolled: 1-line block ×4, first 2 shown]
	v_add_f64 v[40:41], v[110:111], v[40:41]
	v_add_f64 v[42:43], v[116:117], v[42:43]
	v_fma_f64 v[110:111], v[62:63], s[42:43], -v[142:143]
	v_fma_f64 v[116:117], v[60:61], s[46:47], v[148:149]
	v_fma_f64 v[142:143], v[84:85], s[20:21], v[118:119]
	;; [unrolled: 1-line block ×5, first 2 shown]
	v_fma_f64 v[118:119], v[84:85], s[20:21], -v[118:119]
	v_fma_f64 v[140:141], v[78:79], s[30:31], v[140:141]
	v_add_f64 v[40:41], v[110:111], v[40:41]
	v_add_f64 v[42:43], v[116:117], v[42:43]
	;; [unrolled: 1-line block ×4, first 2 shown]
	v_fma_f64 v[110:111], v[74:75], s[14:15], v[169:170]
	v_fma_f64 v[116:117], v[70:71], s[36:37], v[171:172]
	v_mul_f64 v[142:143], v[92:93], s[46:47]
	v_mul_f64 v[148:149], v[86:87], s[42:43]
	v_add_f64 v[32:33], v[165:166], v[32:33]
	v_add_f64 v[34:35], v[167:168], v[34:35]
	v_mul_f64 v[165:166], v[76:77], s[38:39]
	v_mul_f64 v[167:168], v[72:73], s[6:7]
	v_add_f64 v[36:37], v[110:111], v[36:37]
	v_add_f64 v[38:39], v[116:117], v[38:39]
	v_fma_f64 v[110:111], v[66:67], s[42:43], v[142:143]
	v_fma_f64 v[116:117], v[64:65], s[44:45], v[148:149]
	v_add_f64 v[118:119], v[118:119], v[181:182]
	v_add_f64 v[140:141], v[140:141], v[185:186]
	v_fma_f64 v[169:170], v[74:75], s[14:15], -v[169:170]
	v_fma_f64 v[171:172], v[70:71], s[8:9], v[171:172]
	v_fma_f64 v[150:151], v[94:95], s[14:15], -v[150:151]
	v_fma_f64 v[162:163], v[98:99], s[36:37], v[162:163]
	v_add_f64 v[110:111], v[110:111], v[36:37]
	v_add_f64 v[38:39], v[116:117], v[38:39]
	v_fma_f64 v[116:117], v[62:63], s[6:7], v[165:166]
	v_fma_f64 v[173:174], v[60:61], s[18:19], v[167:168]
	v_mul_f64 v[175:176], v[102:103], s[22:23]
	v_mul_f64 v[177:178], v[100:101], s[24:25]
	v_add_f64 v[118:119], v[169:170], v[118:119]
	v_add_f64 v[140:141], v[171:172], v[140:141]
	v_fma_f64 v[142:143], v[66:67], s[42:43], -v[142:143]
	v_fma_f64 v[148:149], v[64:65], s[46:47], v[148:149]
	v_mul_f64 v[126:127], v[126:127], s[38:39]
	v_add_f64 v[36:37], v[150:151], v[40:41]
	v_add_f64 v[40:41], v[116:117], v[110:111]
	;; [unrolled: 1-line block ×3, first 2 shown]
	v_fma_f64 v[116:117], v[94:95], s[24:25], v[175:176]
	v_fma_f64 v[150:151], v[98:99], s[34:35], v[177:178]
	v_add_f64 v[118:119], v[142:143], v[118:119]
	v_add_f64 v[142:143], v[148:149], v[140:141]
	v_fma_f64 v[148:149], v[62:63], s[6:7], -v[165:166]
	v_fma_f64 v[165:166], v[60:61], s[38:39], v[167:168]
	v_add_f64 v[38:39], v[162:163], v[42:43]
	v_fma_f64 v[162:163], v[84:85], s[6:7], v[126:127]
	v_mul_f64 v[140:141], v[124:125], s[6:7]
	v_mul_f64 v[132:133], v[132:133], s[26:27]
	v_add_f64 v[40:41], v[116:117], v[40:41]
	v_add_f64 v[42:43], v[150:151], v[110:111]
	;; [unrolled: 1-line block ×4, first 2 shown]
	v_mul_f64 v[134:135], v[134:135], s[28:29]
	v_add_f64 v[142:143], v[162:163], v[160:161]
	v_fma_f64 v[148:149], v[78:79], s[18:19], v[140:141]
	v_fma_f64 v[150:151], v[74:75], s[28:29], v[132:133]
	v_add_f64 v[160:161], v[4:5], v[144:145]
	v_add_f64 v[162:163], v[6:7], v[146:147]
	v_fma_f64 v[84:85], v[84:85], s[6:7], -v[126:127]
	v_fma_f64 v[78:79], v[78:79], s[38:39], v[140:141]
	v_mul_f64 v[92:93], v[92:93], s[36:37]
	v_fma_f64 v[74:75], v[74:75], s[28:29], -v[132:133]
	v_add_f64 v[108:109], v[148:149], v[108:109]
	v_add_f64 v[126:127], v[150:151], v[142:143]
	v_fma_f64 v[142:143], v[70:71], s[40:41], v[134:135]
	v_add_f64 v[140:141], v[160:161], v[136:137]
	v_add_f64 v[148:149], v[162:163], v[138:139]
	;; [unrolled: 1-line block ×4, first 2 shown]
	v_mul_f64 v[86:87], v[86:87], s[14:15]
	v_fma_f64 v[70:71], v[70:71], s[26:27], v[134:135]
	v_fma_f64 v[150:151], v[66:67], s[14:15], v[92:93]
	v_add_f64 v[106:107], v[142:143], v[108:109]
	v_add_f64 v[104:105], v[140:141], v[128:129]
	;; [unrolled: 1-line block ×4, first 2 shown]
	v_fma_f64 v[66:67], v[66:67], s[14:15], -v[92:93]
	v_fma_f64 v[132:133], v[64:65], s[8:9], v[86:87]
	v_mul_f64 v[76:77], v[76:77], s[22:23]
	v_add_f64 v[70:71], v[70:71], v[78:79]
	v_mul_f64 v[72:73], v[72:73], s[24:25]
	v_add_f64 v[84:85], v[104:105], v[120:121]
	v_add_f64 v[92:93], v[108:109], v[122:123]
	v_fma_f64 v[64:65], v[64:65], s[36:37], v[86:87]
	v_add_f64 v[66:67], v[66:67], v[74:75]
	v_add_f64 v[78:79], v[132:133], v[106:107]
	v_fma_f64 v[86:87], v[62:63], s[24:25], v[76:77]
	v_fma_f64 v[62:63], v[62:63], s[24:25], -v[76:77]
	v_fma_f64 v[76:77], v[60:61], s[34:35], v[72:73]
	v_add_f64 v[74:75], v[84:85], v[112:113]
	v_add_f64 v[84:85], v[92:93], v[114:115]
	;; [unrolled: 1-line block ×3, first 2 shown]
	v_fma_f64 v[60:61], v[60:61], s[22:23], v[72:73]
	v_mul_f64 v[70:71], v[102:103], s[30:31]
	v_mul_f64 v[72:73], v[100:101], s[20:21]
	v_add_f64 v[126:127], v[150:151], v[126:127]
	v_add_f64 v[76:77], v[76:77], v[78:79]
	;; [unrolled: 1-line block ×6, first 2 shown]
	v_fma_f64 v[64:65], v[94:95], s[20:21], v[70:71]
	v_fma_f64 v[70:71], v[94:95], s[20:21], -v[70:71]
	v_fma_f64 v[118:119], v[94:95], s[24:25], -v[175:176]
	v_fma_f64 v[124:125], v[98:99], s[22:23], v[177:178]
	v_fma_f64 v[66:67], v[98:99], s[16:17], v[72:73]
	v_add_f64 v[74:75], v[74:75], v[54:55]
	v_add_f64 v[84:85], v[84:85], v[96:97]
	;; [unrolled: 1-line block ×3, first 2 shown]
	v_fma_f64 v[72:73], v[98:99], s[30:31], v[72:73]
	v_add_f64 v[70:71], v[70:71], v[78:79]
	v_lshrrev_b32_e32 v78, 1, v154
	v_mul_u32_u24_e32 v78, 26, v78
	v_or_b32_e32 v78, v78, v159
	v_lshl_add_u32 v78, v78, 4, 0
	v_add_f64 v[60:61], v[118:119], v[110:111]
	v_add_f64 v[62:63], v[124:125], v[116:117]
	;; [unrolled: 1-line block ×5, first 2 shown]
	ds_write_b128 v78, v[0:3]
	ds_write_b128 v78, v[12:15] offset:32
	ds_write_b128 v78, v[20:23] offset:64
	;; [unrolled: 1-line block ×3, first 2 shown]
	v_add_f64 v[12:13], v[146:147], -v[52:53]
	v_add_f64 v[64:65], v[64:65], v[86:87]
	v_add_f64 v[72:73], v[72:73], v[92:93]
	ds_write_b128 v78, v[32:35] offset:128
	ds_write_b128 v78, v[40:43] offset:160
	;; [unrolled: 1-line block ×4, first 2 shown]
	v_add_f64 v[74:75], v[74:75], v[80:81]
	v_add_f64 v[76:77], v[76:77], v[82:83]
	ds_write_b128 v78, v[60:63] offset:256
	ds_write_b128 v78, v[36:39] offset:288
	;; [unrolled: 1-line block ×4, first 2 shown]
	v_add_f64 v[14:15], v[144:145], v[58:59]
	v_mul_f64 v[16:17], v[12:13], s[18:19]
	ds_write_b128 v78, v[8:11] offset:384
	v_add_f64 v[18:19], v[146:147], v[52:53]
	v_add_f64 v[0:1], v[74:75], v[68:69]
	;; [unrolled: 1-line block ×3, first 2 shown]
	v_mul_f64 v[10:11], v[12:13], s[16:17]
	v_mul_f64 v[20:21], v[12:13], s[26:27]
	;; [unrolled: 1-line block ×3, first 2 shown]
	v_fma_f64 v[22:23], v[14:15], s[6:7], v[16:17]
	v_fma_f64 v[42:43], v[14:15], s[6:7], -v[16:17]
	v_mul_f64 v[16:17], v[12:13], s[22:23]
	v_add_f64 v[0:1], v[0:1], v[56:57]
	v_add_f64 v[2:3], v[2:3], v[48:49]
	v_add_f64 v[40:41], v[144:145], -v[58:59]
	v_mul_f64 v[12:13], v[12:13], s[44:45]
	v_fma_f64 v[60:61], v[14:15], s[20:21], v[10:11]
	v_fma_f64 v[62:63], v[14:15], s[20:21], -v[10:11]
	v_mul_f64 v[10:11], v[18:19], s[6:7]
	v_fma_f64 v[64:65], v[14:15], s[24:25], v[16:17]
	v_fma_f64 v[66:67], v[14:15], s[24:25], -v[16:17]
	v_fma_f64 v[70:71], v[14:15], s[28:29], v[20:21]
	v_fma_f64 v[72:73], v[14:15], s[28:29], -v[20:21]
	v_add_f64 v[16:17], v[138:139], -v[48:49]
	v_add_f64 v[20:21], v[138:139], v[48:49]
	v_add_f64 v[0:1], v[0:1], v[58:59]
	;; [unrolled: 1-line block ×3, first 2 shown]
	v_fma_f64 v[52:53], v[14:15], s[14:15], v[8:9]
	v_fma_f64 v[58:59], v[14:15], s[14:15], -v[8:9]
	v_fma_f64 v[74:75], v[14:15], s[42:43], v[12:13]
	v_fma_f64 v[76:77], v[14:15], s[42:43], -v[12:13]
	v_fma_f64 v[14:15], v[40:41], s[38:39], v[10:11]
	v_add_f64 v[8:9], v[136:137], v[56:57]
	v_mul_f64 v[78:79], v[16:17], s[8:9]
	v_fma_f64 v[84:85], v[40:41], s[18:19], v[10:11]
	v_add_f64 v[26:27], v[130:131], -v[44:45]
	v_add_f64 v[10:11], v[136:137], -v[56:57]
	v_mul_f64 v[56:57], v[20:21], s[14:15]
	v_add_f64 v[34:35], v[130:131], v[44:45]
	v_add_f64 v[22:23], v[4:5], v[22:23]
	;; [unrolled: 1-line block ×3, first 2 shown]
	v_fma_f64 v[32:33], v[8:9], s[14:15], v[78:79]
	v_add_f64 v[36:37], v[6:7], v[14:15]
	v_mul_f64 v[92:93], v[26:27], s[16:17]
	v_add_f64 v[14:15], v[128:129], -v[68:69]
	v_fma_f64 v[38:39], v[10:11], s[36:37], v[56:57]
	v_mul_f64 v[68:69], v[34:35], s[20:21]
	v_add_f64 v[24:25], v[122:123], -v[82:83]
	v_add_f64 v[28:29], v[122:123], v[82:83]
	v_mul_f64 v[30:31], v[18:19], s[14:15]
	v_mul_f64 v[48:49], v[18:19], s[20:21]
	;; [unrolled: 1-line block ×5, first 2 shown]
	v_add_f64 v[32:33], v[32:33], v[22:23]
	v_fma_f64 v[82:83], v[12:13], s[20:21], v[92:93]
	v_add_f64 v[98:99], v[38:39], v[36:37]
	v_fma_f64 v[100:101], v[14:15], s[30:31], v[68:69]
	v_add_f64 v[18:19], v[120:121], v[80:81]
	v_mul_f64 v[102:103], v[24:25], s[22:23]
	v_add_f64 v[22:23], v[120:121], -v[80:81]
	v_mul_f64 v[80:81], v[28:29], s[24:25]
	v_add_f64 v[38:39], v[114:115], -v[90:91]
	v_fma_f64 v[104:105], v[40:41], s[36:37], v[30:31]
	v_fma_f64 v[106:107], v[40:41], s[8:9], v[30:31]
	v_add_f64 v[36:37], v[114:115], v[90:91]
	v_add_f64 v[82:83], v[82:83], v[32:33]
	;; [unrolled: 1-line block ×3, first 2 shown]
	v_fma_f64 v[98:99], v[18:19], s[24:25], v[102:103]
	v_fma_f64 v[100:101], v[22:23], s[34:35], v[80:81]
	v_add_f64 v[30:31], v[112:113], v[88:89]
	v_add_f64 v[32:33], v[112:113], -v[88:89]
	v_mul_f64 v[88:89], v[38:39], s[26:27]
	v_fma_f64 v[110:111], v[40:41], s[30:31], v[48:49]
	v_fma_f64 v[112:113], v[40:41], s[16:17], v[48:49]
	;; [unrolled: 1-line block ×3, first 2 shown]
	v_add_f64 v[48:49], v[98:99], v[82:83]
	v_add_f64 v[82:83], v[100:101], v[90:91]
	v_fma_f64 v[100:101], v[40:41], s[40:41], v[44:45]
	v_add_f64 v[120:121], v[4:5], v[42:43]
	v_fma_f64 v[90:91], v[30:31], s[28:29], v[88:89]
	v_fma_f64 v[78:79], v[8:9], s[14:15], -v[78:79]
	v_add_f64 v[44:45], v[50:51], v[96:97]
	v_fma_f64 v[56:57], v[10:11], s[8:9], v[56:57]
	v_fma_f64 v[114:115], v[40:41], s[34:35], v[86:87]
	;; [unrolled: 1-line block ×5, first 2 shown]
	v_add_f64 v[90:91], v[90:91], v[48:49]
	v_add_f64 v[48:49], v[50:51], -v[96:97]
	v_add_f64 v[50:51], v[6:7], v[84:85]
	v_add_f64 v[40:41], v[46:47], v[54:55]
	v_add_f64 v[42:43], v[46:47], -v[54:55]
	v_add_f64 v[46:47], v[78:79], v[120:121]
	v_add_f64 v[54:55], v[6:7], v[104:105]
	;; [unrolled: 1-line block ×6, first 2 shown]
	v_fma_f64 v[68:69], v[14:15], s[16:17], v[68:69]
	v_mul_f64 v[70:71], v[16:17], s[22:23]
	v_fma_f64 v[72:73], v[18:19], s[24:25], -v[102:103]
	v_mul_f64 v[102:103], v[20:21], s[24:25]
	v_mul_f64 v[108:109], v[36:37], s[28:29]
	v_add_f64 v[52:53], v[4:5], v[52:53]
	v_add_f64 v[58:59], v[4:5], v[58:59]
	;; [unrolled: 1-line block ×11, first 2 shown]
	v_fma_f64 v[4:5], v[8:9], s[24:25], v[70:71]
	v_mul_f64 v[74:75], v[26:27], s[44:45]
	v_add_f64 v[50:51], v[68:69], v[50:51]
	v_fma_f64 v[68:69], v[10:11], s[34:35], v[102:103]
	v_mul_f64 v[76:77], v[34:35], s[42:43]
	v_fma_f64 v[98:99], v[32:33], s[40:41], v[108:109]
	v_fma_f64 v[92:93], v[12:13], s[20:21], -v[92:93]
	v_mul_f64 v[56:57], v[48:49], s[44:45]
	v_add_f64 v[4:5], v[4:5], v[52:53]
	v_fma_f64 v[52:53], v[12:13], s[42:43], v[74:75]
	v_mul_f64 v[120:121], v[24:25], s[40:41]
	v_add_f64 v[54:55], v[68:69], v[54:55]
	v_fma_f64 v[68:69], v[14:15], s[46:47], v[76:77]
	v_mul_f64 v[122:123], v[28:29], s[28:29]
	v_add_f64 v[82:83], v[98:99], v[82:83]
	v_add_f64 v[98:99], v[6:7], v[114:115]
	;; [unrolled: 1-line block ×5, first 2 shown]
	v_mul_f64 v[92:93], v[44:45], s[42:43]
	v_add_f64 v[114:115], v[6:7], v[118:119]
	v_fma_f64 v[118:119], v[40:41], s[42:43], v[56:57]
	v_fma_f64 v[80:81], v[22:23], s[22:23], v[80:81]
	v_add_f64 v[94:95], v[6:7], v[94:95]
	v_add_f64 v[6:7], v[52:53], v[4:5]
	v_fma_f64 v[52:53], v[18:19], s[28:29], v[120:121]
	v_mul_f64 v[124:125], v[38:39], s[30:31]
	v_add_f64 v[54:55], v[68:69], v[54:55]
	v_fma_f64 v[68:69], v[22:23], s[26:27], v[122:123]
	v_mul_f64 v[126:127], v[36:37], s[20:21]
	v_add_f64 v[46:47], v[72:73], v[46:47]
	v_fma_f64 v[72:73], v[42:43], s[46:47], v[92:93]
	v_fma_f64 v[88:89], v[30:31], s[28:29], -v[88:89]
	v_add_f64 v[4:5], v[118:119], v[90:91]
	v_add_f64 v[50:51], v[80:81], v[50:51]
	v_fma_f64 v[80:81], v[32:33], s[26:27], v[108:109]
	v_add_f64 v[52:53], v[52:53], v[6:7]
	v_fma_f64 v[90:91], v[30:31], s[20:21], v[124:125]
	v_fma_f64 v[70:71], v[8:9], s[24:25], -v[70:71]
	v_add_f64 v[54:55], v[68:69], v[54:55]
	v_fma_f64 v[68:69], v[32:33], s[16:17], v[126:127]
	v_add_f64 v[6:7], v[72:73], v[82:83]
	v_fma_f64 v[72:73], v[10:11], s[22:23], v[102:103]
	v_add_f64 v[46:47], v[88:89], v[46:47]
	v_add_f64 v[80:81], v[80:81], v[50:51]
	v_add_f64 v[82:83], v[90:91], v[52:53]
	v_add_f64 v[50:51], v[70:71], v[58:59]
	v_fma_f64 v[52:53], v[12:13], s[42:43], -v[74:75]
	v_add_f64 v[58:59], v[68:69], v[54:55]
	v_fma_f64 v[54:55], v[40:41], s[42:43], -v[56:57]
	v_mul_f64 v[68:69], v[16:17], s[44:45]
	v_mul_f64 v[70:71], v[20:21], s[42:43]
	v_add_f64 v[56:57], v[72:73], v[78:79]
	v_fma_f64 v[74:75], v[14:15], s[44:45], v[76:77]
	v_fma_f64 v[76:77], v[18:19], s[28:29], -v[120:121]
	v_add_f64 v[52:53], v[52:53], v[50:51]
	v_fma_f64 v[88:89], v[42:43], s[44:45], v[92:93]
	v_mul_f64 v[102:103], v[26:27], s[34:35]
	v_fma_f64 v[90:91], v[8:9], s[42:43], v[68:69]
	v_fma_f64 v[92:93], v[10:11], s[46:47], v[70:71]
	v_add_f64 v[50:51], v[54:55], v[46:47]
	v_mul_f64 v[46:47], v[34:35], s[24:25]
	v_mul_f64 v[72:73], v[48:49], s[38:39]
	;; [unrolled: 1-line block ×3, first 2 shown]
	v_add_f64 v[56:57], v[74:75], v[56:57]
	v_add_f64 v[74:75], v[76:77], v[52:53]
	;; [unrolled: 1-line block ×4, first 2 shown]
	v_fma_f64 v[84:85], v[12:13], s[24:25], v[102:103]
	v_mul_f64 v[90:91], v[24:25], s[38:39]
	v_fma_f64 v[92:93], v[14:15], s[22:23], v[46:47]
	v_mul_f64 v[108:109], v[28:29], s[6:7]
	v_fma_f64 v[54:55], v[40:41], s[6:7], v[72:73]
	v_fma_f64 v[118:119], v[42:43], s[18:19], v[78:79]
	;; [unrolled: 1-line block ×3, first 2 shown]
	v_add_f64 v[52:53], v[88:89], v[80:81]
	v_add_f64 v[60:61], v[84:85], v[60:61]
	v_fma_f64 v[80:81], v[18:19], s[6:7], v[90:91]
	v_add_f64 v[76:77], v[92:93], v[76:77]
	v_fma_f64 v[84:85], v[22:23], s[18:19], v[108:109]
	v_mul_f64 v[88:89], v[38:39], s[8:9]
	v_mul_f64 v[92:93], v[36:37], s[14:15]
	v_fma_f64 v[122:123], v[30:31], s[20:21], -v[124:125]
	v_add_f64 v[54:55], v[54:55], v[82:83]
	v_add_f64 v[82:83], v[120:121], v[56:57]
	;; [unrolled: 1-line block ×3, first 2 shown]
	v_fma_f64 v[68:69], v[8:9], s[42:43], -v[68:69]
	v_add_f64 v[76:77], v[84:85], v[76:77]
	v_fma_f64 v[80:81], v[30:31], s[14:15], v[88:89]
	v_fma_f64 v[84:85], v[32:33], s[36:37], v[92:93]
	v_add_f64 v[56:57], v[118:119], v[58:59]
	v_fma_f64 v[58:59], v[10:11], s[44:45], v[70:71]
	v_fma_f64 v[120:121], v[32:33], s[30:31], v[126:127]
	v_add_f64 v[70:71], v[122:123], v[74:75]
	v_add_f64 v[62:63], v[68:69], v[62:63]
	v_fma_f64 v[68:69], v[12:13], s[24:25], -v[102:103]
	v_add_f64 v[80:81], v[80:81], v[60:61]
	v_add_f64 v[76:77], v[84:85], v[76:77]
	v_fma_f64 v[60:61], v[40:41], s[6:7], -v[72:73]
	v_add_f64 v[72:73], v[58:59], v[96:97]
	v_fma_f64 v[46:47], v[14:15], s[34:35], v[46:47]
	v_mul_f64 v[84:85], v[16:17], s[40:41]
	v_add_f64 v[74:75], v[120:121], v[82:83]
	v_mul_f64 v[82:83], v[48:49], s[26:27]
	v_add_f64 v[62:63], v[68:69], v[62:63]
	v_fma_f64 v[68:69], v[18:19], s[6:7], -v[90:91]
	v_mul_f64 v[90:91], v[44:45], s[28:29]
	v_add_f64 v[58:59], v[60:61], v[70:71]
	v_mul_f64 v[70:71], v[20:21], s[28:29]
	v_add_f64 v[46:47], v[46:47], v[72:73]
	v_fma_f64 v[60:61], v[8:9], s[28:29], v[84:85]
	v_mul_f64 v[72:73], v[26:27], s[38:39]
	v_fma_f64 v[78:79], v[42:43], s[38:39], v[78:79]
	v_fma_f64 v[96:97], v[40:41], s[28:29], v[82:83]
	;; [unrolled: 1-line block ×3, first 2 shown]
	v_mul_f64 v[120:121], v[34:35], s[6:7]
	v_fma_f64 v[118:119], v[10:11], s[26:27], v[70:71]
	v_mul_f64 v[126:127], v[24:25], s[16:17]
	v_add_f64 v[122:123], v[60:61], v[64:65]
	v_fma_f64 v[124:125], v[12:13], s[6:7], v[72:73]
	v_add_f64 v[68:69], v[68:69], v[62:63]
	v_add_f64 v[60:61], v[78:79], v[74:75]
	v_add_f64 v[62:63], v[96:97], v[80:81]
	v_add_f64 v[64:65], v[102:103], v[76:77]
	v_add_f64 v[74:75], v[118:119], v[98:99]
	v_fma_f64 v[76:77], v[14:15], s[18:19], v[120:121]
	v_fma_f64 v[80:81], v[18:19], s[20:21], v[126:127]
	v_add_f64 v[78:79], v[124:125], v[122:123]
	v_mul_f64 v[96:97], v[28:29], s[20:21]
	v_fma_f64 v[84:85], v[8:9], s[28:29], -v[84:85]
	v_fma_f64 v[70:71], v[10:11], s[40:41], v[70:71]
	v_fma_f64 v[108:109], v[22:23], s[38:39], v[108:109]
	v_mul_f64 v[98:99], v[38:39], s[46:47]
	v_add_f64 v[74:75], v[76:77], v[74:75]
	v_fma_f64 v[72:73], v[12:13], s[6:7], -v[72:73]
	v_add_f64 v[76:77], v[80:81], v[78:79]
	v_fma_f64 v[78:79], v[22:23], s[30:31], v[96:97]
	v_add_f64 v[66:67], v[84:85], v[66:67]
	v_mul_f64 v[84:85], v[36:37], s[42:43]
	v_add_f64 v[70:71], v[70:71], v[86:87]
	v_fma_f64 v[86:87], v[14:15], s[38:39], v[120:121]
	v_fma_f64 v[88:89], v[30:31], s[14:15], -v[88:89]
	v_add_f64 v[46:47], v[108:109], v[46:47]
	v_fma_f64 v[92:93], v[32:33], s[8:9], v[92:93]
	v_fma_f64 v[80:81], v[30:31], s[42:43], v[98:99]
	v_add_f64 v[74:75], v[78:79], v[74:75]
	v_fma_f64 v[78:79], v[32:33], s[44:45], v[84:85]
	v_add_f64 v[66:67], v[72:73], v[66:67]
	v_fma_f64 v[72:73], v[18:19], s[20:21], -v[126:127]
	v_add_f64 v[70:71], v[86:87], v[70:71]
	v_mul_f64 v[86:87], v[44:45], s[14:15]
	v_add_f64 v[68:69], v[88:89], v[68:69]
	v_add_f64 v[46:47], v[92:93], v[46:47]
	;; [unrolled: 1-line block ×3, first 2 shown]
	v_mul_f64 v[80:81], v[48:49], s[36:37]
	v_fma_f64 v[88:89], v[22:23], s[16:17], v[96:97]
	v_fma_f64 v[82:83], v[40:41], s[28:29], -v[82:83]
	v_fma_f64 v[90:91], v[42:43], s[26:27], v[90:91]
	v_add_f64 v[74:75], v[78:79], v[74:75]
	v_add_f64 v[92:93], v[72:73], v[66:67]
	v_mul_f64 v[96:97], v[16:17], s[30:31]
	v_fma_f64 v[72:73], v[42:43], s[8:9], v[86:87]
	v_mul_f64 v[102:103], v[20:21], s[20:21]
	v_fma_f64 v[98:99], v[30:31], s[42:43], -v[98:99]
	v_fma_f64 v[78:79], v[40:41], s[14:15], v[80:81]
	v_add_f64 v[88:89], v[88:89], v[70:71]
	v_fma_f64 v[84:85], v[32:33], s[46:47], v[84:85]
	v_add_f64 v[66:67], v[82:83], v[68:69]
	v_add_f64 v[68:69], v[90:91], v[46:47]
	v_fma_f64 v[46:47], v[8:9], s[20:21], v[96:97]
	v_mul_f64 v[82:83], v[26:27], s[8:9]
	v_fma_f64 v[90:91], v[10:11], s[16:17], v[102:103]
	v_mul_f64 v[108:109], v[34:35], s[14:15]
	v_add_f64 v[72:73], v[72:73], v[74:75]
	v_add_f64 v[74:75], v[98:99], v[92:93]
	v_fma_f64 v[96:97], v[8:9], s[20:21], -v[96:97]
	v_fma_f64 v[98:99], v[10:11], s[30:31], v[102:103]
	v_add_f64 v[70:71], v[78:79], v[76:77]
	v_add_f64 v[76:77], v[84:85], v[88:89]
	;; [unrolled: 1-line block ×3, first 2 shown]
	v_fma_f64 v[78:79], v[12:13], s[14:15], v[82:83]
	v_add_f64 v[84:85], v[90:91], v[100:101]
	v_fma_f64 v[88:89], v[14:15], s[36:37], v[108:109]
	v_mul_f64 v[90:91], v[24:25], s[46:47]
	v_mul_f64 v[92:93], v[28:29], s[42:43]
	v_fma_f64 v[80:81], v[40:41], s[14:15], -v[80:81]
	v_fma_f64 v[86:87], v[42:43], s[36:37], v[86:87]
	v_add_f64 v[96:97], v[96:97], v[106:107]
	v_add_f64 v[98:99], v[98:99], v[110:111]
	v_fma_f64 v[82:83], v[12:13], s[14:15], -v[82:83]
	v_fma_f64 v[104:105], v[14:15], s[8:9], v[108:109]
	v_add_f64 v[46:47], v[78:79], v[46:47]
	v_add_f64 v[78:79], v[88:89], v[84:85]
	v_fma_f64 v[84:85], v[18:19], s[42:43], v[90:91]
	v_mul_f64 v[100:101], v[38:39], s[38:39]
	v_mul_f64 v[102:103], v[36:37], s[6:7]
	v_add_f64 v[74:75], v[80:81], v[74:75]
	v_add_f64 v[76:77], v[86:87], v[76:77]
	;; [unrolled: 1-line block ×4, first 2 shown]
	v_fma_f64 v[86:87], v[18:19], s[42:43], -v[90:91]
	v_fma_f64 v[90:91], v[22:23], s[46:47], v[92:93]
	v_mul_f64 v[16:17], v[16:17], s[38:39]
	v_mul_f64 v[20:21], v[20:21], s[6:7]
	v_add_f64 v[46:47], v[84:85], v[46:47]
	v_fma_f64 v[84:85], v[30:31], s[6:7], v[100:101]
	v_mul_f64 v[26:27], v[26:27], s[26:27]
	v_mul_f64 v[34:35], v[34:35], s[28:29]
	v_add_f64 v[80:81], v[86:87], v[80:81]
	v_add_f64 v[82:83], v[90:91], v[82:83]
	v_fma_f64 v[86:87], v[30:31], s[6:7], -v[100:101]
	v_fma_f64 v[90:91], v[32:33], s[38:39], v[102:103]
	v_fma_f64 v[98:99], v[8:9], s[6:7], v[16:17]
	;; [unrolled: 1-line block ×3, first 2 shown]
	v_fma_f64 v[8:9], v[8:9], s[6:7], -v[16:17]
	v_fma_f64 v[10:11], v[10:11], s[38:39], v[20:21]
	v_mul_f64 v[24:25], v[24:25], s[36:37]
	v_mul_f64 v[28:29], v[28:29], s[14:15]
	v_add_f64 v[80:81], v[86:87], v[80:81]
	v_add_f64 v[82:83], v[90:91], v[82:83]
	;; [unrolled: 1-line block ×4, first 2 shown]
	v_fma_f64 v[86:87], v[12:13], s[28:29], v[26:27]
	v_fma_f64 v[90:91], v[14:15], s[40:41], v[34:35]
	v_add_f64 v[8:9], v[8:9], v[116:117]
	v_fma_f64 v[12:13], v[12:13], s[28:29], -v[26:27]
	v_fma_f64 v[88:89], v[22:23], s[44:45], v[92:93]
	v_add_f64 v[10:11], v[10:11], v[94:95]
	v_fma_f64 v[14:15], v[14:15], s[26:27], v[34:35]
	v_fma_f64 v[26:27], v[18:19], s[14:15], v[24:25]
	v_add_f64 v[16:17], v[86:87], v[16:17]
	v_add_f64 v[20:21], v[90:91], v[20:21]
	v_fma_f64 v[34:35], v[22:23], s[8:9], v[28:29]
	v_mul_f64 v[38:39], v[38:39], s[22:23]
	v_add_f64 v[8:9], v[12:13], v[8:9]
	v_fma_f64 v[12:13], v[18:19], s[14:15], -v[24:25]
	v_add_f64 v[78:79], v[88:89], v[78:79]
	v_fma_f64 v[88:89], v[32:33], s[18:19], v[102:103]
	v_mul_f64 v[36:37], v[36:37], s[24:25]
	v_add_f64 v[10:11], v[14:15], v[10:11]
	v_fma_f64 v[14:15], v[22:23], s[36:37], v[28:29]
	v_add_f64 v[16:17], v[26:27], v[16:17]
	v_add_f64 v[18:19], v[34:35], v[20:21]
	v_fma_f64 v[20:21], v[30:31], s[24:25], v[38:39]
	v_mul_f64 v[24:25], v[48:49], s[30:31]
	v_add_f64 v[8:9], v[12:13], v[8:9]
	v_fma_f64 v[12:13], v[30:31], s[24:25], -v[38:39]
	v_add_f64 v[46:47], v[84:85], v[46:47]
	v_add_f64 v[78:79], v[88:89], v[78:79]
	v_mul_f64 v[84:85], v[48:49], s[22:23]
	v_mul_f64 v[88:89], v[44:45], s[24:25]
	v_fma_f64 v[22:23], v[32:33], s[34:35], v[36:37]
	v_mul_f64 v[26:27], v[44:45], s[20:21]
	v_add_f64 v[10:11], v[14:15], v[10:11]
	v_fma_f64 v[14:15], v[32:33], s[22:23], v[36:37]
	v_add_f64 v[16:17], v[20:21], v[16:17]
	v_fma_f64 v[20:21], v[40:41], s[20:21], v[24:25]
	v_add_f64 v[32:33], v[12:13], v[8:9]
	v_fma_f64 v[24:25], v[40:41], s[20:21], -v[24:25]
	v_fma_f64 v[92:93], v[40:41], s[24:25], v[84:85]
	v_fma_f64 v[96:97], v[42:43], s[34:35], v[88:89]
	v_add_f64 v[18:19], v[22:23], v[18:19]
	v_fma_f64 v[22:23], v[42:43], s[16:17], v[26:27]
	v_add_f64 v[34:35], v[14:15], v[10:11]
	v_fma_f64 v[26:27], v[42:43], s[30:31], v[26:27]
	v_fma_f64 v[28:29], v[40:41], s[24:25], -v[84:85]
	v_fma_f64 v[30:31], v[42:43], s[22:23], v[88:89]
	v_add_f64 v[16:17], v[20:21], v[16:17]
	v_add_f64 v[20:21], v[24:25], v[32:33]
	v_lshrrev_b32_e32 v24, 1, v158
	v_add_f64 v[8:9], v[92:93], v[46:47]
	v_add_f64 v[10:11], v[96:97], v[78:79]
	v_mul_u32_u24_e32 v24, 26, v24
	v_add_f64 v[18:19], v[22:23], v[18:19]
	v_or_b32_e32 v24, v24, v159
	v_subrev_u32_e32 v165, 26, v154
	v_add_f64 v[22:23], v[26:27], v[34:35]
	v_lshl_add_u32 v24, v24, 4, 0
	v_cndmask_b32_e32 v168, v165, v154, vcc
	v_add_f64 v[12:13], v[28:29], v[80:81]
	v_add_f64 v[14:15], v[30:31], v[82:83]
	ds_write_b128 v24, v[0:3]
	ds_write_b128 v24, v[4:7] offset:32
	ds_write_b128 v24, v[54:57] offset:64
	;; [unrolled: 1-line block ×12, first 2 shown]
	v_mul_i32_i24_e32 v0, 12, v168
	v_mov_b32_e32 v1, 0
	v_lshlrev_b64 v[0:1], 4, v[0:1]
	v_mov_b32_e32 v2, s13
	v_add_co_u32_e64 v16, s[2:3], s12, v0
	v_addc_co_u32_e64 v17, s[2:3], v2, v1, s[2:3]
	s_waitcnt lgkmcnt(0)
	; wave barrier
	s_waitcnt lgkmcnt(0)
	global_load_dwordx4 v[0:3], v[16:17], off offset:384
	global_load_dwordx4 v[44:47], v[16:17], off offset:400
	;; [unrolled: 1-line block ×11, first 2 shown]
	s_nop 0
	global_load_dwordx4 v[16:19], v[16:17], off offset:560
	s_movk_i32 s2, 0x4f
	v_mul_lo_u16_sdwa v20, v158, s2 dst_sel:DWORD dst_unused:UNUSED_PAD src0_sel:BYTE_0 src1_sel:DWORD
	v_lshrrev_b16_e32 v166, 11, v20
	v_mul_lo_u16_e32 v20, 26, v166
	v_sub_u16_e32 v167, v158, v20
	v_mov_b32_e32 v20, 12
	v_mul_u32_u24_sdwa v20, v167, v20 dst_sel:DWORD dst_unused:UNUSED_PAD src0_sel:BYTE_0 src1_sel:DWORD
	v_lshlrev_b32_e32 v124, 4, v20
	ds_read_b128 v[48:51], v164 offset:1664
	ds_read_b128 v[24:27], v164 offset:2496
	;; [unrolled: 1-line block ×3, first 2 shown]
	global_load_dwordx4 v[28:31], v124, s[12:13] offset:384
	global_load_dwordx4 v[20:23], v124, s[12:13] offset:400
	ds_read_b128 v[40:43], v164 offset:4160
	global_load_dwordx4 v[36:39], v124, s[12:13] offset:416
	global_load_dwordx4 v[32:35], v124, s[12:13] offset:432
	ds_read_b128 v[68:71], v164 offset:4992
	v_cmp_lt_u32_e64 s[2:3], 25, v154
	s_waitcnt vmcnt(15) lgkmcnt(4)
	v_mul_f64 v[52:53], v[50:51], v[2:3]
	v_mul_f64 v[2:3], v[48:49], v[2:3]
	s_waitcnt vmcnt(14) lgkmcnt(2)
	v_mul_f64 v[58:59], v[56:57], v[46:47]
	v_mul_f64 v[46:47], v[54:55], v[46:47]
	;; [unrolled: 3-line block ×3, first 2 shown]
	v_fma_f64 v[136:137], v[48:49], v[0:1], v[52:53]
	v_fma_f64 v[140:141], v[50:51], v[0:1], -v[2:3]
	ds_read_b128 v[48:51], v164 offset:5824
	ds_read_b128 v[0:3], v164 offset:6656
	v_fma_f64 v[126:127], v[54:55], v[44:45], v[58:59]
	ds_read_b128 v[52:55], v164 offset:7488
	ds_read_b128 v[84:87], v164 offset:8320
	v_fma_f64 v[148:149], v[56:57], v[44:45], -v[46:47]
	v_fma_f64 v[130:131], v[68:69], v[60:61], v[72:73]
	ds_read_b128 v[56:59], v164 offset:9152
	ds_read_b128 v[44:47], v164 offset:9984
	v_fma_f64 v[150:151], v[70:71], v[60:61], -v[62:63]
	global_load_dwordx4 v[68:71], v124, s[12:13] offset:448
	global_load_dwordx4 v[60:63], v124, s[12:13] offset:464
	s_waitcnt vmcnt(14) lgkmcnt(4)
	v_mul_f64 v[74:75], v[2:3], v[66:67]
	v_mul_f64 v[66:67], v[0:1], v[66:67]
	s_waitcnt vmcnt(13) lgkmcnt(2)
	v_mul_f64 v[88:89], v[86:87], v[78:79]
	v_mul_f64 v[78:79], v[84:85], v[78:79]
	;; [unrolled: 3-line block ×3, first 2 shown]
	v_fma_f64 v[134:135], v[0:1], v[64:65], v[74:75]
	v_fma_f64 v[142:143], v[2:3], v[64:65], -v[66:67]
	ds_read_b128 v[72:75], v164 offset:10816
	ds_read_b128 v[0:3], v164 offset:11648
	v_fma_f64 v[128:129], v[84:85], v[76:77], v[88:89]
	global_load_dwordx4 v[64:67], v124, s[12:13] offset:480
	v_fma_f64 v[138:139], v[86:87], v[76:77], -v[78:79]
	ds_read_b128 v[76:79], v164 offset:12480
	ds_read_b128 v[104:107], v164 offset:13312
	global_load_dwordx4 v[92:95], v124, s[12:13] offset:496
	s_waitcnt vmcnt(13) lgkmcnt(2)
	v_mul_f64 v[108:109], v[2:3], v[98:99]
	v_mul_f64 v[98:99], v[0:1], v[98:99]
	v_fma_f64 v[132:133], v[44:45], v[80:81], v[90:91]
	global_load_dwordx4 v[88:91], v124, s[12:13] offset:512
	s_waitcnt vmcnt(13) lgkmcnt(0)
	v_mul_f64 v[44:45], v[106:107], v[102:103]
	v_fma_f64 v[146:147], v[46:47], v[80:81], -v[82:83]
	v_mul_f64 v[46:47], v[104:105], v[102:103]
	global_load_dwordx4 v[80:83], v124, s[12:13] offset:528
	ds_read_b128 v[84:87], v164 offset:14144
	ds_read_b128 v[112:115], v164 offset:14976
	v_fma_f64 v[144:145], v[0:1], v[96:97], v[108:109]
	v_fma_f64 v[158:159], v[2:3], v[96:97], -v[98:99]
	ds_read_b128 v[96:99], v164 offset:15808
	ds_read_b128 v[116:119], v164 offset:16640
	v_fma_f64 v[160:161], v[104:105], v[100:101], v[44:45]
	v_fma_f64 v[162:163], v[106:107], v[100:101], -v[46:47]
	ds_read_b128 v[100:103], v164 offset:17472
	ds_read_b128 v[44:47], v164
	s_waitcnt vmcnt(13) lgkmcnt(4)
	v_mul_f64 v[120:121], v[114:115], v[6:7]
	global_load_dwordx4 v[108:111], v124, s[12:13] offset:544
	global_load_dwordx4 v[104:107], v124, s[12:13] offset:560
	v_mul_f64 v[6:7], v[112:113], v[6:7]
	s_waitcnt lgkmcnt(0)
	v_add_f64 v[124:125], v[44:45], v[136:137]
	v_add_f64 v[173:174], v[46:47], v[140:141]
	ds_read_b128 v[0:3], v164 offset:832
	ds_read_b128 v[169:172], v164 offset:18304
	s_waitcnt vmcnt(14)
	v_mul_f64 v[122:123], v[118:119], v[14:15]
	v_mul_f64 v[14:15], v[116:117], v[14:15]
	v_fma_f64 v[175:176], v[112:113], v[4:5], v[120:121]
	v_fma_f64 v[177:178], v[114:115], v[4:5], -v[6:7]
	s_waitcnt vmcnt(13) lgkmcnt(0)
	v_mul_f64 v[120:121], v[171:172], v[10:11]
	v_add_f64 v[124:125], v[124:125], v[126:127]
	v_add_f64 v[173:174], v[173:174], v[148:149]
	ds_read_b128 v[4:7], v164 offset:19136
	ds_read_b128 v[112:115], v164 offset:19968
	v_mul_f64 v[179:180], v[169:170], v[10:11]
	v_fma_f64 v[181:182], v[116:117], v[12:13], v[122:123]
	v_fma_f64 v[14:15], v[118:119], v[12:13], -v[14:15]
	v_fma_f64 v[169:170], v[169:170], v[8:9], v[120:121]
	s_waitcnt vmcnt(12) lgkmcnt(0)
	v_mul_f64 v[116:117], v[114:115], v[18:19]
	v_mul_f64 v[18:19], v[112:113], v[18:19]
	v_add_f64 v[118:119], v[124:125], v[130:131]
	v_add_f64 v[120:121], v[173:174], v[150:151]
	v_fma_f64 v[8:9], v[171:172], v[8:9], -v[179:180]
	s_waitcnt vmcnt(11)
	v_mul_f64 v[122:123], v[26:27], v[30:31]
	v_mul_f64 v[30:31], v[24:25], v[30:31]
	ds_read_b128 v[10:13], v164 offset:20800
	v_fma_f64 v[171:172], v[112:113], v[16:17], v[116:117]
	v_fma_f64 v[16:17], v[114:115], v[16:17], -v[18:19]
	v_add_f64 v[112:113], v[118:119], v[134:135]
	v_add_f64 v[114:115], v[120:121], v[142:143]
	s_waitcnt vmcnt(10)
	v_mul_f64 v[18:19], v[42:43], v[22:23]
	v_mul_f64 v[22:23], v[40:41], v[22:23]
	v_fma_f64 v[122:123], v[24:25], v[28:29], v[122:123]
	s_waitcnt vmcnt(9)
	v_mul_f64 v[24:25], v[50:51], v[38:39]
	v_fma_f64 v[124:125], v[26:27], v[28:29], -v[30:31]
	v_mul_f64 v[26:27], v[48:49], v[38:39]
	v_add_f64 v[30:31], v[112:113], v[128:129]
	v_add_f64 v[38:39], v[114:115], v[138:139]
	v_fma_f64 v[118:119], v[40:41], v[20:21], v[18:19]
	v_fma_f64 v[120:121], v[42:43], v[20:21], -v[22:23]
	s_waitcnt vmcnt(8)
	v_mul_f64 v[18:19], v[52:53], v[34:35]
	v_mul_f64 v[28:29], v[54:55], v[34:35]
	v_fma_f64 v[114:115], v[48:49], v[36:37], v[24:25]
	v_fma_f64 v[116:117], v[50:51], v[36:37], -v[26:27]
	v_add_f64 v[20:21], v[30:31], v[132:133]
	v_add_f64 v[22:23], v[38:39], v[146:147]
	s_waitcnt vmcnt(7)
	v_mul_f64 v[24:25], v[58:59], v[70:71]
	v_mul_f64 v[26:27], v[56:57], v[70:71]
	v_fma_f64 v[70:71], v[54:55], v[32:33], -v[18:19]
	s_waitcnt vmcnt(6)
	v_mul_f64 v[18:19], v[72:73], v[62:63]
	v_fma_f64 v[112:113], v[52:53], v[32:33], v[28:29]
	v_mul_f64 v[28:29], v[74:75], v[62:63]
	v_add_f64 v[20:21], v[20:21], v[144:145]
	v_add_f64 v[22:23], v[22:23], v[158:159]
	v_fma_f64 v[56:57], v[56:57], v[68:69], v[24:25]
	v_fma_f64 v[58:59], v[58:59], v[68:69], -v[26:27]
	s_waitcnt vmcnt(5)
	v_mul_f64 v[30:31], v[78:79], v[66:67]
	v_fma_f64 v[52:53], v[74:75], v[60:61], -v[18:19]
	v_mul_f64 v[24:25], v[76:77], v[66:67]
	v_fma_f64 v[48:49], v[72:73], v[60:61], v[28:29]
	v_add_f64 v[18:19], v[20:21], v[160:161]
	v_add_f64 v[20:21], v[22:23], v[162:163]
	s_waitcnt vmcnt(4)
	v_mul_f64 v[22:23], v[86:87], v[94:95]
	v_mul_f64 v[26:27], v[84:85], v[94:95]
	v_fma_f64 v[50:51], v[76:77], v[64:65], v[30:31]
	s_waitcnt vmcnt(3)
	v_mul_f64 v[28:29], v[98:99], v[90:91]
	v_fma_f64 v[54:55], v[78:79], v[64:65], -v[24:25]
	v_mul_f64 v[24:25], v[96:97], v[90:91]
	s_waitcnt vmcnt(2)
	v_mul_f64 v[30:31], v[102:103], v[82:83]
	v_add_f64 v[20:21], v[20:21], v[177:178]
	v_add_f64 v[18:19], v[18:19], v[175:176]
	v_fma_f64 v[60:61], v[84:85], v[92:93], v[22:23]
	v_mul_f64 v[22:23], v[100:101], v[82:83]
	v_fma_f64 v[62:63], v[86:87], v[92:93], -v[26:27]
	v_fma_f64 v[64:65], v[96:97], v[88:89], v[28:29]
	v_fma_f64 v[66:67], v[98:99], v[88:89], -v[24:25]
	v_fma_f64 v[68:69], v[100:101], v[80:81], v[30:31]
	v_add_f64 v[20:21], v[20:21], v[14:15]
	v_add_f64 v[18:19], v[18:19], v[181:182]
	s_waitcnt vmcnt(1)
	v_mul_f64 v[24:25], v[6:7], v[110:111]
	v_mul_f64 v[26:27], v[4:5], v[110:111]
	s_waitcnt vmcnt(0) lgkmcnt(0)
	v_mul_f64 v[28:29], v[12:13], v[106:107]
	v_fma_f64 v[72:73], v[102:103], v[80:81], -v[22:23]
	v_add_f64 v[22:23], v[140:141], -v[16:17]
	v_mul_f64 v[30:31], v[10:11], v[106:107]
	v_add_f64 v[20:21], v[20:21], v[8:9]
	v_add_f64 v[18:19], v[18:19], v[169:170]
	v_fma_f64 v[74:75], v[4:5], v[108:109], v[24:25]
	v_fma_f64 v[76:77], v[6:7], v[108:109], -v[26:27]
	v_fma_f64 v[78:79], v[10:11], v[104:105], v[28:29]
	v_add_f64 v[10:11], v[136:137], v[171:172]
	v_mul_f64 v[24:25], v[22:23], s[18:19]
	v_fma_f64 v[80:81], v[12:13], v[104:105], -v[30:31]
	v_add_f64 v[6:7], v[20:21], v[16:17]
	v_add_f64 v[12:13], v[140:141], v[16:17]
	v_mul_f64 v[16:17], v[22:23], s[8:9]
	v_mul_f64 v[20:21], v[22:23], s[16:17]
	;; [unrolled: 1-line block ×5, first 2 shown]
	v_add_f64 v[4:5], v[18:19], v[171:172]
	v_add_f64 v[18:19], v[136:137], -v[171:172]
	v_fma_f64 v[26:27], v[10:11], s[6:7], v[24:25]
	v_fma_f64 v[24:25], v[10:11], s[6:7], -v[24:25]
	v_fma_f64 v[32:33], v[10:11], s[14:15], v[16:17]
	v_fma_f64 v[16:17], v[10:11], s[14:15], -v[16:17]
	;; [unrolled: 2-line block ×3, first 2 shown]
	v_fma_f64 v[36:37], v[10:11], s[24:25], v[28:29]
	v_mul_f64 v[38:39], v[12:13], s[6:7]
	v_fma_f64 v[28:29], v[10:11], s[24:25], -v[28:29]
	v_fma_f64 v[40:41], v[10:11], s[28:29], v[30:31]
	v_fma_f64 v[30:31], v[10:11], s[28:29], -v[30:31]
	v_fma_f64 v[42:43], v[10:11], s[42:43], v[22:23]
	v_mul_f64 v[82:83], v[12:13], s[14:15]
	v_fma_f64 v[10:11], v[10:11], s[42:43], -v[22:23]
	v_mul_f64 v[22:23], v[12:13], s[20:21]
	v_mul_f64 v[86:87], v[12:13], s[24:25]
	;; [unrolled: 1-line block ×3, first 2 shown]
	v_add_f64 v[173:174], v[148:149], -v[8:9]
	v_add_f64 v[148:149], v[148:149], v[8:9]
	v_fma_f64 v[84:85], v[18:19], s[38:39], v[38:39]
	v_mul_f64 v[12:13], v[12:13], s[42:43]
	v_fma_f64 v[90:91], v[18:19], s[36:37], v[82:83]
	v_fma_f64 v[82:83], v[18:19], s[8:9], v[82:83]
	;; [unrolled: 1-line block ×6, first 2 shown]
	v_add_f64 v[179:180], v[44:45], v[20:21]
	v_add_f64 v[187:188], v[126:127], v[169:170]
	v_add_f64 v[169:170], v[126:127], -v[169:170]
	v_mul_f64 v[8:9], v[173:174], s[8:9]
	v_mul_f64 v[20:21], v[148:149], s[14:15]
	v_add_f64 v[191:192], v[150:151], -v[14:15]
	v_add_f64 v[150:151], v[150:151], v[14:15]
	v_fma_f64 v[38:39], v[18:19], s[18:19], v[38:39]
	v_fma_f64 v[86:87], v[18:19], s[22:23], v[86:87]
	;; [unrolled: 1-line block ×5, first 2 shown]
	v_add_f64 v[18:19], v[44:45], v[26:27]
	v_add_f64 v[26:27], v[46:47], v[84:85]
	;; [unrolled: 1-line block ×8, first 2 shown]
	v_fma_f64 v[14:15], v[187:188], s[14:15], v[8:9]
	v_fma_f64 v[22:23], v[169:170], s[36:37], v[20:21]
	v_add_f64 v[92:93], v[130:131], v[181:182]
	v_add_f64 v[82:83], v[130:131], -v[181:182]
	v_mul_f64 v[28:29], v[191:192], s[16:17]
	v_mul_f64 v[130:131], v[150:151], s[20:21]
	v_add_f64 v[96:97], v[142:143], -v[177:178]
	v_add_f64 v[94:95], v[142:143], v[177:178]
	v_add_f64 v[189:190], v[46:47], v[86:87]
	;; [unrolled: 1-line block ×5, first 2 shown]
	v_fma_f64 v[22:23], v[92:93], s[20:21], v[28:29]
	v_fma_f64 v[26:27], v[82:83], s[30:31], v[130:131]
	v_add_f64 v[84:85], v[134:135], v[175:176]
	v_add_f64 v[86:87], v[134:135], -v[175:176]
	v_mul_f64 v[30:31], v[96:97], s[22:23]
	v_mul_f64 v[134:135], v[94:95], s[24:25]
	v_add_f64 v[106:107], v[46:47], v[98:99]
	v_add_f64 v[104:105], v[138:139], -v[162:163]
	v_add_f64 v[14:15], v[22:23], v[14:15]
	v_add_f64 v[18:19], v[26:27], v[18:19]
	v_add_f64 v[98:99], v[138:139], v[162:163]
	v_add_f64 v[24:25], v[44:45], v[24:25]
	v_fma_f64 v[22:23], v[84:85], s[24:25], v[30:31]
	v_fma_f64 v[26:27], v[86:87], s[34:35], v[134:135]
	v_add_f64 v[38:39], v[46:47], v[38:39]
	v_add_f64 v[136:137], v[46:47], v[90:91]
	;; [unrolled: 1-line block ×7, first 2 shown]
	v_add_f64 v[88:89], v[128:129], -v[160:161]
	v_mul_f64 v[12:13], v[104:105], s[26:27]
	v_mul_f64 v[42:43], v[98:99], s[28:29]
	v_add_f64 v[10:11], v[22:23], v[14:15]
	v_add_f64 v[14:15], v[26:27], v[18:19]
	v_add_f64 v[102:103], v[146:147], -v[158:159]
	v_add_f64 v[100:101], v[146:147], v[158:159]
	v_fma_f64 v[8:9], v[187:188], s[14:15], -v[8:9]
	v_fma_f64 v[18:19], v[169:170], s[8:9], v[20:21]
	v_add_f64 v[32:33], v[44:45], v[32:33]
	v_add_f64 v[16:17], v[44:45], v[16:17]
	v_add_f64 v[34:35], v[44:45], v[34:35]
	v_add_f64 v[36:37], v[44:45], v[36:37]
	v_add_f64 v[40:41], v[44:45], v[40:41]
	v_fma_f64 v[20:21], v[46:47], s[28:29], v[12:13]
	v_fma_f64 v[22:23], v[88:89], s[40:41], v[42:43]
	v_add_f64 v[90:91], v[132:133], v[144:145]
	v_add_f64 v[44:45], v[132:133], -v[144:145]
	v_mul_f64 v[26:27], v[102:103], s[44:45]
	v_mul_f64 v[128:129], v[100:101], s[42:43]
	v_add_f64 v[8:9], v[8:9], v[24:25]
	v_add_f64 v[18:19], v[18:19], v[38:39]
	v_fma_f64 v[24:25], v[92:93], s[20:21], -v[28:29]
	v_fma_f64 v[28:29], v[82:83], s[16:17], v[130:131]
	v_add_f64 v[10:11], v[20:21], v[10:11]
	v_add_f64 v[14:15], v[22:23], v[14:15]
	v_fma_f64 v[20:21], v[90:91], s[42:43], v[26:27]
	v_fma_f64 v[22:23], v[44:45], s[46:47], v[128:129]
	v_mul_f64 v[38:39], v[173:174], s[22:23]
	v_mul_f64 v[130:131], v[148:149], s[24:25]
	v_add_f64 v[24:25], v[24:25], v[8:9]
	v_add_f64 v[18:19], v[28:29], v[18:19]
	v_fma_f64 v[28:29], v[84:85], s[24:25], -v[30:31]
	v_fma_f64 v[30:31], v[86:87], s[22:23], v[134:135]
	v_add_f64 v[8:9], v[20:21], v[10:11]
	v_add_f64 v[10:11], v[22:23], v[14:15]
	v_fma_f64 v[14:15], v[187:188], s[24:25], v[38:39]
	v_fma_f64 v[20:21], v[169:170], s[34:35], v[130:131]
	;; [unrolled: 10-line block ×6, first 2 shown]
	v_mul_f64 v[130:131], v[173:174], s[44:45]
	v_fma_f64 v[42:43], v[84:85], s[28:29], -v[42:43]
	v_add_f64 v[22:23], v[22:23], v[16:17]
	v_add_f64 v[24:25], v[24:25], v[18:19]
	v_fma_f64 v[134:135], v[86:87], s[40:41], v[134:135]
	v_mul_f64 v[132:133], v[148:149], s[42:43]
	v_add_f64 v[16:17], v[28:29], v[26:27]
	v_add_f64 v[18:19], v[30:31], v[20:21]
	v_fma_f64 v[20:21], v[187:188], s[42:43], v[130:131]
	v_mul_f64 v[28:29], v[191:192], s[34:35]
	v_add_f64 v[22:23], v[42:43], v[22:23]
	v_fma_f64 v[42:43], v[46:47], s[20:21], -v[128:129]
	v_add_f64 v[24:25], v[134:135], v[24:25]
	v_fma_f64 v[128:129], v[88:89], s[30:31], v[136:137]
	v_fma_f64 v[26:27], v[169:170], s[46:47], v[132:133]
	v_mul_f64 v[30:31], v[150:151], s[24:25]
	v_add_f64 v[20:21], v[20:21], v[34:35]
	v_fma_f64 v[34:35], v[92:93], s[24:25], v[28:29]
	v_fma_f64 v[32:33], v[90:91], s[6:7], -v[32:33]
	v_add_f64 v[22:23], v[42:43], v[22:23]
	v_fma_f64 v[38:39], v[44:45], s[38:39], v[38:39]
	v_add_f64 v[24:25], v[128:129], v[24:25]
	v_add_f64 v[26:27], v[26:27], v[171:172]
	v_fma_f64 v[134:135], v[82:83], s[22:23], v[30:31]
	v_mul_f64 v[136:137], v[96:97], s[38:39]
	v_mul_f64 v[138:139], v[94:95], s[6:7]
	v_add_f64 v[34:35], v[34:35], v[20:21]
	v_add_f64 v[20:21], v[32:33], v[22:23]
	v_fma_f64 v[32:33], v[169:170], s[44:45], v[132:133]
	v_add_f64 v[22:23], v[38:39], v[24:25]
	v_fma_f64 v[24:25], v[187:188], s[42:43], -v[130:131]
	v_add_f64 v[26:27], v[134:135], v[26:27]
	v_fma_f64 v[42:43], v[84:85], s[6:7], v[136:137]
	v_fma_f64 v[128:129], v[86:87], s[18:19], v[138:139]
	v_mul_f64 v[134:135], v[104:105], s[8:9]
	v_mul_f64 v[140:141], v[98:99], s[14:15]
	v_add_f64 v[32:33], v[32:33], v[183:184]
	v_fma_f64 v[28:29], v[92:93], s[24:25], -v[28:29]
	v_add_f64 v[24:25], v[24:25], v[179:180]
	v_fma_f64 v[30:31], v[82:83], s[34:35], v[30:31]
	v_add_f64 v[34:35], v[42:43], v[34:35]
	v_add_f64 v[26:27], v[128:129], v[26:27]
	v_fma_f64 v[38:39], v[46:47], s[14:15], v[134:135]
	v_fma_f64 v[42:43], v[88:89], s[36:37], v[140:141]
	v_mul_f64 v[128:129], v[102:103], s[26:27]
	v_mul_f64 v[130:131], v[100:101], s[28:29]
	v_add_f64 v[28:29], v[28:29], v[24:25]
	v_add_f64 v[30:31], v[30:31], v[32:33]
	v_fma_f64 v[32:33], v[84:85], s[6:7], -v[136:137]
	v_fma_f64 v[136:137], v[86:87], s[38:39], v[138:139]
	v_add_f64 v[34:35], v[38:39], v[34:35]
	v_add_f64 v[26:27], v[42:43], v[26:27]
	v_fma_f64 v[38:39], v[90:91], s[28:29], v[128:129]
	v_fma_f64 v[42:43], v[44:45], s[40:41], v[130:131]
	v_mul_f64 v[132:133], v[173:174], s[40:41]
	v_mul_f64 v[142:143], v[148:149], s[28:29]
	v_add_f64 v[28:29], v[32:33], v[28:29]
	v_add_f64 v[30:31], v[136:137], v[30:31]
	v_fma_f64 v[32:33], v[46:47], s[14:15], -v[134:135]
	;; [unrolled: 10-line block ×10, first 2 shown]
	v_fma_f64 v[140:141], v[86:87], s[46:47], v[158:159]
	v_add_f64 v[36:37], v[40:41], v[36:37]
	v_add_f64 v[38:39], v[136:137], v[38:39]
	v_fma_f64 v[40:41], v[46:47], s[6:7], v[138:139]
	v_fma_f64 v[136:137], v[88:89], s[18:19], v[146:147]
	v_mul_f64 v[160:161], v[102:103], s[22:23]
	v_mul_f64 v[162:163], v[100:101], s[24:25]
	v_fma_f64 v[142:143], v[44:45], s[36:37], v[142:143]
	v_add_f64 v[128:129], v[134:135], v[128:129]
	v_add_f64 v[130:131], v[140:141], v[130:131]
	v_fma_f64 v[134:135], v[46:47], s[6:7], -v[138:139]
	v_fma_f64 v[138:139], v[88:89], s[38:39], v[146:147]
	v_mul_f64 v[146:147], v[173:174], s[38:39]
	v_mul_f64 v[148:149], v[148:149], s[6:7]
	v_fma_f64 v[132:133], v[90:91], s[14:15], -v[132:133]
	v_add_f64 v[40:41], v[40:41], v[36:37]
	v_add_f64 v[136:137], v[136:137], v[38:39]
	v_fma_f64 v[144:145], v[90:91], s[24:25], v[160:161]
	v_fma_f64 v[158:159], v[44:45], s[34:35], v[162:163]
	v_add_f64 v[38:39], v[142:143], v[126:127]
	v_add_f64 v[126:127], v[134:135], v[128:129]
	;; [unrolled: 1-line block ×3, first 2 shown]
	v_fma_f64 v[134:135], v[187:188], s[6:7], v[146:147]
	v_fma_f64 v[140:141], v[169:170], s[18:19], v[148:149]
	v_fma_f64 v[142:143], v[187:188], s[6:7], -v[146:147]
	v_mul_f64 v[138:139], v[191:192], s[26:27]
	v_add_f64 v[146:147], v[0:1], v[122:123]
	v_add_f64 v[36:37], v[132:133], v[42:43]
	v_add_f64 v[40:41], v[144:145], v[40:41]
	v_add_f64 v[42:43], v[158:159], v[136:137]
	v_fma_f64 v[144:145], v[169:170], s[38:39], v[148:149]
	v_mul_f64 v[136:137], v[150:151], s[28:29]
	v_add_f64 v[148:149], v[2:3], v[124:125]
	v_add_f64 v[106:107], v[140:141], v[106:107]
	;; [unrolled: 1-line block ×3, first 2 shown]
	v_fma_f64 v[140:141], v[92:93], s[28:29], v[138:139]
	v_fma_f64 v[92:93], v[92:93], s[28:29], -v[138:139]
	v_add_f64 v[138:139], v[146:147], v[118:119]
	v_add_f64 v[110:111], v[144:145], v[110:111]
	v_fma_f64 v[142:143], v[82:83], s[40:41], v[136:137]
	v_add_f64 v[144:145], v[148:149], v[120:121]
	v_fma_f64 v[82:83], v[82:83], s[26:27], v[136:137]
	v_mul_f64 v[96:97], v[96:97], s[36:37]
	v_add_f64 v[134:135], v[134:135], v[175:176]
	v_add_f64 v[92:93], v[92:93], v[108:109]
	;; [unrolled: 1-line block ×3, first 2 shown]
	v_mul_f64 v[94:95], v[94:95], s[14:15]
	v_mul_f64 v[98:99], v[98:99], s[24:25]
	v_add_f64 v[136:137], v[144:145], v[116:117]
	v_add_f64 v[82:83], v[82:83], v[110:111]
	v_fma_f64 v[110:111], v[84:85], s[14:15], v[96:97]
	v_fma_f64 v[84:85], v[84:85], s[14:15], -v[96:97]
	v_add_f64 v[134:135], v[140:141], v[134:135]
	v_add_f64 v[96:97], v[108:109], v[112:113]
	v_fma_f64 v[138:139], v[86:87], s[8:9], v[94:95]
	v_fma_f64 v[86:87], v[86:87], s[36:37], v[94:95]
	v_mul_f64 v[94:95], v[104:105], s[22:23]
	v_add_f64 v[104:105], v[136:137], v[70:71]
	v_fma_f64 v[130:131], v[90:91], s[24:25], -v[160:161]
	v_add_f64 v[84:85], v[84:85], v[92:93]
	v_add_f64 v[108:109], v[110:111], v[134:135]
	;; [unrolled: 1-line block ×5, first 2 shown]
	v_fma_f64 v[86:87], v[46:47], s[24:25], v[94:95]
	v_add_f64 v[96:97], v[104:105], v[58:59]
	v_fma_f64 v[104:105], v[88:89], s[34:35], v[98:99]
	v_fma_f64 v[46:47], v[46:47], s[24:25], -v[94:95]
	v_fma_f64 v[88:89], v[88:89], s[22:23], v[98:99]
	v_mul_f64 v[94:95], v[102:103], s[30:31]
	v_add_f64 v[92:93], v[92:93], v[48:49]
	v_add_f64 v[106:107], v[138:139], v[106:107]
	;; [unrolled: 1-line block ×4, first 2 shown]
	v_mul_f64 v[98:99], v[100:101], s[20:21]
	v_add_f64 v[102:103], v[46:47], v[84:85]
	v_add_f64 v[88:89], v[88:89], v[82:83]
	v_fma_f64 v[82:83], v[90:91], s[20:21], v[94:95]
	v_fma_f64 v[90:91], v[90:91], s[20:21], -v[94:95]
	v_add_f64 v[92:93], v[92:93], v[50:51]
	v_fma_f64 v[132:133], v[44:45], s[22:23], v[162:163]
	v_add_f64 v[94:95], v[96:97], v[54:55]
	v_add_f64 v[100:101], v[104:105], v[106:107]
	v_fma_f64 v[84:85], v[44:45], s[16:17], v[98:99]
	v_fma_f64 v[96:97], v[44:45], s[30:31], v[98:99]
	v_add_f64 v[82:83], v[82:83], v[86:87]
	v_add_f64 v[86:87], v[90:91], v[102:103]
	;; [unrolled: 1-line block ×5, first 2 shown]
	v_mov_b32_e32 v94, 0x1520
	v_cndmask_b32_e64 v94, 0, v94, s[2:3]
	v_lshlrev_b32_e32 v95, 4, v168
	v_add3_u32 v94, 0, v94, v95
	v_add_f64 v[46:47], v[132:133], v[128:129]
	v_add_f64 v[90:91], v[90:91], v[64:65]
	;; [unrolled: 1-line block ×3, first 2 shown]
	; wave barrier
	ds_write_b128 v94, v[4:7]
	ds_write_b128 v94, v[8:11] offset:416
	ds_write_b128 v94, v[16:19] offset:832
	;; [unrolled: 1-line block ×3, first 2 shown]
	v_add_f64 v[16:17], v[124:125], -v[80:81]
	v_add_f64 v[84:85], v[84:85], v[100:101]
	v_add_f64 v[88:89], v[96:97], v[88:89]
	;; [unrolled: 1-line block ×3, first 2 shown]
	ds_write_b128 v94, v[32:35] offset:1664
	ds_write_b128 v94, v[40:43] offset:2080
	;; [unrolled: 1-line block ×4, first 2 shown]
	v_add_f64 v[6:7], v[92:93], v[72:73]
	ds_write_b128 v94, v[44:47] offset:3328
	ds_write_b128 v94, v[36:39] offset:3744
	ds_write_b128 v94, v[28:31] offset:4160
	ds_write_b128 v94, v[20:23] offset:4576
	v_add_f64 v[4:5], v[4:5], v[74:75]
	v_add_f64 v[18:19], v[122:123], v[78:79]
	v_mul_f64 v[20:21], v[16:17], s[18:19]
	ds_write_b128 v94, v[12:15] offset:4992
	v_add_f64 v[44:45], v[122:123], -v[78:79]
	v_add_f64 v[6:7], v[6:7], v[76:77]
	v_mul_f64 v[12:13], v[16:17], s[16:17]
	v_mul_f64 v[14:15], v[16:17], s[22:23]
	v_add_f64 v[8:9], v[4:5], v[78:79]
	v_add_f64 v[4:5], v[124:125], v[80:81]
	v_fma_f64 v[22:23], v[18:19], s[6:7], v[20:21]
	v_fma_f64 v[46:47], v[18:19], s[6:7], -v[20:21]
	v_mul_f64 v[20:21], v[16:17], s[26:27]
	v_add_f64 v[10:11], v[6:7], v[80:81]
	v_mul_f64 v[6:7], v[16:17], s[8:9]
	v_mul_f64 v[16:17], v[16:17], s[44:45]
	v_add_f64 v[24:25], v[120:121], v[76:77]
	v_mul_f64 v[26:27], v[4:5], s[6:7]
	v_fma_f64 v[80:81], v[18:19], s[20:21], v[12:13]
	v_fma_f64 v[82:83], v[18:19], s[20:21], -v[12:13]
	v_fma_f64 v[88:89], v[18:19], s[28:29], v[20:21]
	v_fma_f64 v[90:91], v[18:19], s[28:29], -v[20:21]
	v_add_f64 v[20:21], v[120:121], -v[76:77]
	v_fma_f64 v[78:79], v[18:19], s[14:15], v[6:7]
	v_fma_f64 v[6:7], v[18:19], s[14:15], -v[6:7]
	v_fma_f64 v[84:85], v[18:19], s[24:25], v[14:15]
	v_fma_f64 v[86:87], v[18:19], s[24:25], -v[14:15]
	;; [unrolled: 2-line block ×3, first 2 shown]
	v_fma_f64 v[18:19], v[44:45], s[38:39], v[26:27]
	v_add_f64 v[12:13], v[118:119], v[74:75]
	v_mul_f64 v[96:97], v[20:21], s[8:9]
	v_add_f64 v[30:31], v[116:117], -v[72:73]
	v_add_f64 v[14:15], v[118:119], -v[74:75]
	v_mul_f64 v[74:75], v[24:25], s[14:15]
	v_add_f64 v[38:39], v[116:117], v[72:73]
	v_fma_f64 v[98:99], v[44:45], s[18:19], v[26:27]
	v_add_f64 v[22:23], v[0:1], v[22:23]
	v_add_f64 v[16:17], v[114:115], v[68:69]
	v_fma_f64 v[26:27], v[12:13], s[14:15], v[96:97]
	v_mul_f64 v[72:73], v[30:31], s[16:17]
	v_add_f64 v[36:37], v[2:3], v[18:19]
	v_fma_f64 v[40:41], v[14:15], s[36:37], v[74:75]
	v_add_f64 v[18:19], v[114:115], -v[68:69]
	v_mul_f64 v[68:69], v[38:39], s[20:21]
	v_add_f64 v[28:29], v[70:71], -v[66:67]
	v_add_f64 v[32:33], v[70:71], v[66:67]
	v_mul_f64 v[34:35], v[4:5], s[14:15]
	v_add_f64 v[66:67], v[26:27], v[22:23]
	v_fma_f64 v[70:71], v[16:17], s[20:21], v[72:73]
	v_add_f64 v[36:37], v[40:41], v[36:37]
	v_add_f64 v[22:23], v[112:113], v[64:65]
	v_fma_f64 v[104:105], v[18:19], s[30:31], v[68:69]
	v_mul_f64 v[106:107], v[28:29], s[22:23]
	v_add_f64 v[26:27], v[112:113], -v[64:65]
	v_mul_f64 v[64:65], v[32:33], s[24:25]
	v_add_f64 v[42:43], v[58:59], -v[62:63]
	v_mul_f64 v[76:77], v[4:5], s[20:21]
	v_mul_f64 v[100:101], v[4:5], s[24:25]
	;; [unrolled: 1-line block ×4, first 2 shown]
	v_fma_f64 v[108:109], v[44:45], s[36:37], v[34:35]
	v_fma_f64 v[110:111], v[44:45], s[8:9], v[34:35]
	v_add_f64 v[40:41], v[58:59], v[62:63]
	v_add_f64 v[58:59], v[70:71], v[66:67]
	;; [unrolled: 1-line block ×3, first 2 shown]
	v_fma_f64 v[66:67], v[22:23], s[24:25], v[106:107]
	v_fma_f64 v[70:71], v[26:27], s[34:35], v[64:65]
	v_add_f64 v[34:35], v[56:57], v[60:61]
	v_add_f64 v[36:37], v[56:57], -v[60:61]
	v_mul_f64 v[60:61], v[42:43], s[26:27]
	v_add_f64 v[118:119], v[0:1], v[46:47]
	v_fma_f64 v[96:97], v[12:13], s[14:15], -v[96:97]
	v_mul_f64 v[104:105], v[40:41], s[28:29]
	v_fma_f64 v[112:113], v[44:45], s[30:31], v[76:77]
	v_fma_f64 v[76:77], v[44:45], s[16:17], v[76:77]
	;; [unrolled: 1-line block ×4, first 2 shown]
	v_add_f64 v[56:57], v[66:67], v[58:59]
	v_add_f64 v[58:59], v[70:71], v[62:63]
	v_fma_f64 v[62:63], v[34:35], s[28:29], v[60:61]
	v_fma_f64 v[70:71], v[44:45], s[40:41], v[102:103]
	;; [unrolled: 1-line block ×5, first 2 shown]
	v_add_f64 v[44:45], v[48:49], v[50:51]
	v_add_f64 v[46:47], v[48:49], -v[50:51]
	v_add_f64 v[48:49], v[96:97], v[118:119]
	v_add_f64 v[50:51], v[2:3], v[98:99]
	v_fma_f64 v[74:75], v[14:15], s[8:9], v[74:75]
	v_fma_f64 v[72:73], v[16:17], s[20:21], -v[72:73]
	v_fma_f64 v[66:67], v[36:37], s[40:41], v[104:105]
	v_add_f64 v[62:63], v[62:63], v[56:57]
	v_add_f64 v[56:57], v[52:53], -v[54:55]
	v_add_f64 v[52:53], v[52:53], v[54:55]
	v_add_f64 v[54:55], v[0:1], v[78:79]
	;; [unrolled: 1-line block ×4, first 2 shown]
	v_fma_f64 v[68:69], v[18:19], s[16:17], v[68:69]
	v_add_f64 v[48:49], v[72:73], v[48:49]
	v_mul_f64 v[72:73], v[20:21], s[22:23]
	v_mul_f64 v[110:111], v[24:25], s[24:25]
	v_add_f64 v[58:59], v[66:67], v[58:59]
	v_add_f64 v[66:67], v[2:3], v[108:109]
	;; [unrolled: 1-line block ×11, first 2 shown]
	v_fma_f64 v[74:75], v[22:23], s[24:25], -v[106:107]
	v_add_f64 v[92:93], v[0:1], v[92:93]
	v_add_f64 v[112:113], v[2:3], v[116:117]
	;; [unrolled: 1-line block ×3, first 2 shown]
	v_fma_f64 v[0:1], v[12:13], s[24:25], v[72:73]
	v_mul_f64 v[114:115], v[30:31], s[44:45]
	v_add_f64 v[50:51], v[68:69], v[50:51]
	v_fma_f64 v[68:69], v[14:15], s[34:35], v[110:111]
	v_mul_f64 v[116:117], v[38:39], s[42:43]
	v_add_f64 v[108:109], v[2:3], v[70:71]
	v_mul_f64 v[70:71], v[56:57], s[44:45]
	v_add_f64 v[74:75], v[74:75], v[48:49]
	v_add_f64 v[0:1], v[0:1], v[54:55]
	v_fma_f64 v[48:49], v[16:17], s[42:43], v[114:115]
	v_mul_f64 v[54:55], v[28:29], s[40:41]
	v_add_f64 v[66:67], v[68:69], v[66:67]
	v_fma_f64 v[68:69], v[18:19], s[46:47], v[116:117]
	v_mul_f64 v[122:123], v[32:33], s[28:29]
	v_add_f64 v[76:77], v[2:3], v[76:77]
	v_add_f64 v[100:101], v[2:3], v[100:101]
	v_mul_f64 v[106:107], v[52:53], s[42:43]
	v_add_f64 v[102:103], v[2:3], v[102:103]
	v_fma_f64 v[118:119], v[44:45], s[42:43], v[70:71]
	v_fma_f64 v[64:65], v[26:27], s[22:23], v[64:65]
	v_add_f64 v[124:125], v[2:3], v[4:5]
	v_add_f64 v[0:1], v[48:49], v[0:1]
	v_fma_f64 v[2:3], v[22:23], s[28:29], v[54:55]
	v_mul_f64 v[4:5], v[42:43], s[30:31]
	v_add_f64 v[66:67], v[68:69], v[66:67]
	v_fma_f64 v[68:69], v[26:27], s[26:27], v[122:123]
	v_mul_f64 v[126:127], v[40:41], s[20:21]
	v_fma_f64 v[120:121], v[46:47], s[46:47], v[106:107]
	v_fma_f64 v[60:61], v[34:35], s[28:29], -v[60:61]
	v_add_f64 v[48:49], v[118:119], v[62:63]
	v_add_f64 v[62:63], v[64:65], v[50:51]
	v_fma_f64 v[64:65], v[36:37], s[26:27], v[104:105]
	v_add_f64 v[0:1], v[2:3], v[0:1]
	v_fma_f64 v[2:3], v[34:35], s[20:21], v[4:5]
	v_fma_f64 v[72:73], v[12:13], s[24:25], -v[72:73]
	v_add_f64 v[66:67], v[68:69], v[66:67]
	v_fma_f64 v[68:69], v[36:37], s[16:17], v[126:127]
	v_add_f64 v[50:51], v[120:121], v[58:59]
	v_fma_f64 v[58:59], v[14:15], s[22:23], v[110:111]
	v_add_f64 v[60:61], v[60:61], v[74:75]
	v_add_f64 v[62:63], v[64:65], v[62:63]
	;; [unrolled: 1-line block ×4, first 2 shown]
	v_fma_f64 v[2:3], v[16:17], s[42:43], -v[114:115]
	v_add_f64 v[6:7], v[68:69], v[66:67]
	v_fma_f64 v[66:67], v[44:45], s[42:43], -v[70:71]
	v_mul_f64 v[68:69], v[20:21], s[44:45]
	v_mul_f64 v[70:71], v[24:25], s[42:43]
	v_add_f64 v[58:59], v[58:59], v[78:79]
	v_mul_f64 v[72:73], v[56:57], s[38:39]
	v_fma_f64 v[74:75], v[18:19], s[44:45], v[116:117]
	v_add_f64 v[2:3], v[2:3], v[0:1]
	v_fma_f64 v[104:105], v[46:47], s[44:45], v[106:107]
	v_mul_f64 v[114:115], v[30:31], s[34:35]
	v_fma_f64 v[106:107], v[12:13], s[42:43], v[68:69]
	v_fma_f64 v[110:111], v[14:15], s[46:47], v[70:71]
	v_add_f64 v[0:1], v[66:67], v[60:61]
	v_mul_f64 v[66:67], v[38:39], s[24:25]
	v_fma_f64 v[54:55], v[22:23], s[28:29], -v[54:55]
	v_mul_f64 v[78:79], v[52:53], s[6:7]
	v_add_f64 v[60:61], v[74:75], v[58:59]
	v_fma_f64 v[58:59], v[44:45], s[6:7], v[72:73]
	v_add_f64 v[74:75], v[106:107], v[80:81]
	v_add_f64 v[80:81], v[110:111], v[96:97]
	v_fma_f64 v[96:97], v[16:17], s[24:25], v[114:115]
	v_mul_f64 v[106:107], v[28:29], s[38:39]
	v_fma_f64 v[110:111], v[18:19], s[22:23], v[66:67]
	v_mul_f64 v[116:117], v[32:33], s[6:7]
	v_fma_f64 v[120:121], v[26:27], s[40:41], v[122:123]
	v_add_f64 v[54:55], v[54:55], v[2:3]
	v_fma_f64 v[118:119], v[46:47], s[18:19], v[78:79]
	v_fma_f64 v[4:5], v[34:35], s[20:21], -v[4:5]
	v_add_f64 v[2:3], v[104:105], v[62:63]
	v_add_f64 v[62:63], v[96:97], v[74:75]
	v_fma_f64 v[74:75], v[22:23], s[6:7], v[106:107]
	v_add_f64 v[80:81], v[110:111], v[80:81]
	v_fma_f64 v[96:97], v[26:27], s[18:19], v[116:117]
	v_mul_f64 v[104:105], v[42:43], s[8:9]
	v_add_f64 v[58:59], v[58:59], v[64:65]
	v_add_f64 v[64:65], v[120:121], v[60:61]
	v_fma_f64 v[120:121], v[36:37], s[30:31], v[126:127]
	v_fma_f64 v[68:69], v[12:13], s[42:43], -v[68:69]
	v_mul_f64 v[110:111], v[40:41], s[14:15]
	v_add_f64 v[62:63], v[74:75], v[62:63]
	v_add_f64 v[74:75], v[96:97], v[80:81]
	v_fma_f64 v[80:81], v[34:35], s[14:15], v[104:105]
	v_add_f64 v[60:61], v[118:119], v[6:7]
	v_fma_f64 v[6:7], v[14:15], s[44:45], v[70:71]
	v_add_f64 v[4:5], v[4:5], v[54:55]
	v_add_f64 v[54:55], v[120:121], v[64:65]
	;; [unrolled: 1-line block ×3, first 2 shown]
	v_fma_f64 v[68:69], v[16:17], s[24:25], -v[114:115]
	v_fma_f64 v[72:73], v[44:45], s[6:7], -v[72:73]
	v_fma_f64 v[96:97], v[36:37], s[36:37], v[110:111]
	v_add_f64 v[62:63], v[80:81], v[62:63]
	v_add_f64 v[6:7], v[6:7], v[76:77]
	v_fma_f64 v[66:67], v[18:19], s[34:35], v[66:67]
	v_mul_f64 v[76:77], v[20:21], s[40:41]
	v_mul_f64 v[80:81], v[52:53], s[28:29]
	v_add_f64 v[64:65], v[68:69], v[64:65]
	v_fma_f64 v[68:69], v[22:23], s[6:7], -v[106:107]
	v_add_f64 v[4:5], v[72:73], v[4:5]
	v_mul_f64 v[72:73], v[24:25], s[28:29]
	v_add_f64 v[70:71], v[96:97], v[74:75]
	v_mul_f64 v[74:75], v[56:57], s[26:27]
	v_fma_f64 v[78:79], v[46:47], s[38:39], v[78:79]
	v_add_f64 v[66:67], v[66:67], v[6:7]
	v_fma_f64 v[6:7], v[12:13], s[28:29], v[76:77]
	v_mul_f64 v[82:83], v[30:31], s[38:39]
	v_add_f64 v[68:69], v[68:69], v[64:65]
	v_fma_f64 v[64:65], v[46:47], s[40:41], v[80:81]
	v_fma_f64 v[106:107], v[26:27], s[38:39], v[116:117]
	;; [unrolled: 1-line block ×3, first 2 shown]
	v_mul_f64 v[116:117], v[38:39], s[6:7]
	v_fma_f64 v[96:97], v[44:45], s[28:29], v[74:75]
	v_add_f64 v[84:85], v[6:7], v[84:85]
	v_fma_f64 v[118:119], v[16:17], s[6:7], v[82:83]
	v_mul_f64 v[120:121], v[28:29], s[16:17]
	v_add_f64 v[6:7], v[78:79], v[54:55]
	v_add_f64 v[64:65], v[64:65], v[70:71]
	;; [unrolled: 1-line block ×3, first 2 shown]
	v_fma_f64 v[70:71], v[18:19], s[18:19], v[116:117]
	v_fma_f64 v[76:77], v[12:13], s[28:29], -v[76:77]
	v_add_f64 v[62:63], v[96:97], v[62:63]
	v_add_f64 v[78:79], v[118:119], v[84:85]
	v_fma_f64 v[84:85], v[22:23], s[20:21], v[120:121]
	v_mul_f64 v[96:97], v[32:33], s[20:21]
	v_mul_f64 v[98:99], v[42:43], s[46:47]
	v_fma_f64 v[82:83], v[16:17], s[6:7], -v[82:83]
	v_add_f64 v[54:55], v[70:71], v[54:55]
	v_fma_f64 v[70:71], v[14:15], s[40:41], v[72:73]
	v_add_f64 v[76:77], v[76:77], v[86:87]
	v_fma_f64 v[104:105], v[34:35], s[14:15], -v[104:105]
	v_add_f64 v[66:67], v[106:107], v[66:67]
	v_fma_f64 v[106:107], v[36:37], s[8:9], v[110:111]
	v_add_f64 v[72:73], v[84:85], v[78:79]
	v_fma_f64 v[78:79], v[26:27], s[30:31], v[96:97]
	v_fma_f64 v[84:85], v[34:35], s[42:43], v[98:99]
	v_mul_f64 v[86:87], v[40:41], s[42:43]
	v_add_f64 v[70:71], v[70:71], v[100:101]
	v_fma_f64 v[100:101], v[18:19], s[38:39], v[116:117]
	v_add_f64 v[76:77], v[82:83], v[76:77]
	v_fma_f64 v[82:83], v[22:23], s[20:21], -v[120:121]
	v_add_f64 v[68:69], v[104:105], v[68:69]
	v_add_f64 v[104:105], v[106:107], v[66:67]
	;; [unrolled: 1-line block ×4, first 2 shown]
	v_fma_f64 v[66:67], v[36:37], s[44:45], v[86:87]
	v_mul_f64 v[78:79], v[56:57], s[36:37]
	v_add_f64 v[70:71], v[100:101], v[70:71]
	v_mul_f64 v[84:85], v[52:53], s[14:15]
	v_fma_f64 v[96:97], v[26:27], s[16:17], v[96:97]
	v_fma_f64 v[74:75], v[44:45], s[28:29], -v[74:75]
	v_fma_f64 v[80:81], v[46:47], s[26:27], v[80:81]
	v_add_f64 v[76:77], v[82:83], v[76:77]
	v_mul_f64 v[82:83], v[20:21], s[30:31]
	v_mul_f64 v[110:111], v[24:25], s[20:21]
	v_add_f64 v[54:55], v[66:67], v[54:55]
	v_fma_f64 v[100:101], v[44:45], s[14:15], v[78:79]
	v_fma_f64 v[106:107], v[46:47], s[8:9], v[84:85]
	v_add_f64 v[96:97], v[96:97], v[70:71]
	v_fma_f64 v[98:99], v[34:35], s[42:43], -v[98:99]
	v_fma_f64 v[86:87], v[36:37], s[46:47], v[86:87]
	v_add_f64 v[66:67], v[74:75], v[68:69]
	v_add_f64 v[68:69], v[80:81], v[104:105]
	v_fma_f64 v[74:75], v[12:13], s[20:21], v[82:83]
	v_mul_f64 v[80:81], v[30:31], s[8:9]
	v_fma_f64 v[104:105], v[14:15], s[16:17], v[110:111]
	v_mul_f64 v[114:115], v[38:39], s[14:15]
	v_add_f64 v[70:71], v[100:101], v[72:73]
	v_add_f64 v[72:73], v[106:107], v[54:55]
	;; [unrolled: 1-line block ×5, first 2 shown]
	v_fma_f64 v[86:87], v[16:17], s[14:15], v[80:81]
	v_add_f64 v[88:89], v[104:105], v[108:109]
	v_fma_f64 v[96:97], v[18:19], s[36:37], v[114:115]
	v_mul_f64 v[98:99], v[28:29], s[46:47]
	v_fma_f64 v[82:83], v[12:13], s[20:21], -v[82:83]
	v_fma_f64 v[104:105], v[14:15], s[30:31], v[110:111]
	v_mul_f64 v[100:101], v[32:33], s[42:43]
	v_fma_f64 v[78:79], v[44:45], s[14:15], -v[78:79]
	v_add_f64 v[74:75], v[86:87], v[74:75]
	v_fma_f64 v[80:81], v[16:17], s[14:15], -v[80:81]
	v_add_f64 v[86:87], v[96:97], v[88:89]
	v_fma_f64 v[88:89], v[22:23], s[42:43], v[98:99]
	v_add_f64 v[82:83], v[82:83], v[90:91]
	v_add_f64 v[90:91], v[104:105], v[102:103]
	v_fma_f64 v[102:103], v[18:19], s[8:9], v[114:115]
	v_mul_f64 v[106:107], v[42:43], s[38:39]
	v_mul_f64 v[108:109], v[40:41], s[6:7]
	;; [unrolled: 1-line block ×4, first 2 shown]
	v_add_f64 v[88:89], v[88:89], v[74:75]
	v_add_f64 v[74:75], v[78:79], v[54:55]
	v_add_f64 v[54:55], v[80:81], v[82:83]
	v_add_f64 v[78:79], v[102:103], v[90:91]
	v_fma_f64 v[80:81], v[22:23], s[42:43], -v[98:99]
	v_fma_f64 v[82:83], v[26:27], s[46:47], v[100:101]
	v_fma_f64 v[96:97], v[26:27], s[44:45], v[100:101]
	;; [unrolled: 1-line block ×4, first 2 shown]
	v_mul_f64 v[30:31], v[30:31], s[26:27]
	v_mul_f64 v[38:39], v[38:39], s[28:29]
	v_fma_f64 v[12:13], v[12:13], s[6:7], -v[20:21]
	v_add_f64 v[54:55], v[80:81], v[54:55]
	v_add_f64 v[78:79], v[82:83], v[78:79]
	v_fma_f64 v[80:81], v[34:35], s[6:7], -v[106:107]
	v_fma_f64 v[82:83], v[36:37], s[38:39], v[108:109]
	v_fma_f64 v[14:15], v[14:15], s[38:39], v[24:25]
	v_add_f64 v[20:21], v[100:101], v[92:93]
	v_add_f64 v[24:25], v[102:103], v[112:113]
	v_mul_f64 v[28:29], v[28:29], s[36:37]
	v_mul_f64 v[32:33], v[32:33], s[14:15]
	v_add_f64 v[12:13], v[12:13], v[94:95]
	v_add_f64 v[54:55], v[80:81], v[54:55]
	;; [unrolled: 1-line block ×3, first 2 shown]
	v_fma_f64 v[80:81], v[16:17], s[28:29], v[30:31]
	v_fma_f64 v[82:83], v[18:19], s[40:41], v[38:39]
	v_fma_f64 v[16:17], v[16:17], s[28:29], -v[30:31]
	v_add_f64 v[14:15], v[14:15], v[124:125]
	v_fma_f64 v[18:19], v[18:19], s[26:27], v[38:39]
	v_fma_f64 v[84:85], v[46:47], s[36:37], v[84:85]
	v_add_f64 v[86:87], v[96:97], v[86:87]
	v_fma_f64 v[96:97], v[34:35], s[6:7], v[106:107]
	v_add_f64 v[20:21], v[80:81], v[20:21]
	v_add_f64 v[24:25], v[82:83], v[24:25]
	v_fma_f64 v[30:31], v[22:23], s[14:15], v[28:29]
	v_fma_f64 v[38:39], v[26:27], s[8:9], v[32:33]
	v_mul_f64 v[42:43], v[42:43], s[22:23]
	v_add_f64 v[12:13], v[16:17], v[12:13]
	v_fma_f64 v[16:17], v[22:23], s[14:15], -v[28:29]
	v_mul_f64 v[40:41], v[40:41], s[24:25]
	v_add_f64 v[14:15], v[18:19], v[14:15]
	v_fma_f64 v[18:19], v[26:27], s[36:37], v[32:33]
	v_fma_f64 v[104:105], v[36:37], s[18:19], v[108:109]
	v_add_f64 v[76:77], v[84:85], v[76:77]
	v_add_f64 v[84:85], v[96:97], v[88:89]
	v_mul_f64 v[88:89], v[56:57], s[22:23]
	v_mul_f64 v[90:91], v[52:53], s[24:25]
	v_add_f64 v[20:21], v[30:31], v[20:21]
	v_add_f64 v[22:23], v[38:39], v[24:25]
	v_fma_f64 v[24:25], v[34:35], s[24:25], v[42:43]
	v_mul_f64 v[28:29], v[56:57], s[30:31]
	v_add_f64 v[12:13], v[16:17], v[12:13]
	v_fma_f64 v[16:17], v[34:35], s[24:25], -v[42:43]
	v_fma_f64 v[26:27], v[36:37], s[34:35], v[40:41]
	v_mul_f64 v[30:31], v[52:53], s[20:21]
	v_add_f64 v[14:15], v[18:19], v[14:15]
	v_fma_f64 v[18:19], v[36:37], s[22:23], v[40:41]
	v_add_f64 v[86:87], v[104:105], v[86:87]
	v_fma_f64 v[96:97], v[44:45], s[24:25], v[88:89]
	v_fma_f64 v[98:99], v[46:47], s[34:35], v[90:91]
	v_add_f64 v[20:21], v[24:25], v[20:21]
	v_fma_f64 v[24:25], v[44:45], s[20:21], v[28:29]
	v_add_f64 v[36:37], v[16:17], v[12:13]
	v_fma_f64 v[28:29], v[44:45], s[20:21], -v[28:29]
	v_add_f64 v[22:23], v[26:27], v[22:23]
	v_fma_f64 v[26:27], v[46:47], s[16:17], v[30:31]
	v_fma_f64 v[32:33], v[44:45], s[24:25], -v[88:89]
	v_fma_f64 v[34:35], v[46:47], s[22:23], v[90:91]
	v_add_f64 v[38:39], v[18:19], v[14:15]
	v_fma_f64 v[30:31], v[46:47], s[30:31], v[30:31]
	v_add_f64 v[12:13], v[96:97], v[84:85]
	v_add_f64 v[14:15], v[98:99], v[86:87]
	;; [unrolled: 1-line block ×4, first 2 shown]
	v_mov_b32_e32 v28, 4
	v_add_f64 v[22:23], v[26:27], v[22:23]
	v_lshlrev_b32_sdwa v28, v28, v167 dst_sel:DWORD dst_unused:UNUSED_PAD src0_sel:DWORD src1_sel:BYTE_0
	v_mul_u32_u24_e32 v29, 0x1520, v166
	v_add_f64 v[16:17], v[32:33], v[54:55]
	v_add_f64 v[18:19], v[34:35], v[78:79]
	;; [unrolled: 1-line block ×3, first 2 shown]
	v_add3_u32 v28, 0, v29, v28
	ds_write_b128 v28, v[8:11]
	ds_write_b128 v28, v[48:51] offset:416
	ds_write_b128 v28, v[58:61] offset:832
	;; [unrolled: 1-line block ×12, first 2 shown]
	s_waitcnt lgkmcnt(0)
	; wave barrier
	s_waitcnt lgkmcnt(0)
	ds_read_b128 v[32:35], v164
	ds_read_b128 v[36:39], v164 offset:832
	ds_read_b128 v[108:111], v164 offset:5408
	;; [unrolled: 1-line block ×23, first 2 shown]
                                        ; implicit-def: $vgpr10_vgpr11
                                        ; implicit-def: $vgpr14_vgpr15
	s_and_saveexec_b64 s[2:3], vcc
	s_cbranch_execz .LBB0_21
; %bb.20:
	ds_read_b128 v[4:7], v164 offset:4992
	ds_read_b128 v[0:3], v164 offset:10400
	;; [unrolled: 1-line block ×4, first 2 shown]
	v_mov_b32_e32 v165, v155
.LBB0_21:
	s_or_b64 exec, exec, s[2:3]
	v_mul_u32_u24_e32 v112, 3, v154
	v_lshlrev_b32_e32 v155, 4, v112
	v_mov_b32_e32 v182, s13
	v_add_co_u32_e64 v148, s[2:3], s12, v155
	v_addc_co_u32_e64 v149, s[2:3], 0, v182, s[2:3]
	s_movk_i32 s6, 0x1500
	v_add_co_u32_e64 v116, s[2:3], s6, v148
	v_addc_co_u32_e64 v117, s[2:3], 0, v149, s[2:3]
	v_add_co_u32_e64 v124, s[2:3], s33, v148
	v_addc_co_u32_e64 v125, s[2:3], 0, v149, s[2:3]
	s_movk_i32 s2, 0x1ec0
	v_add_co_u32_e64 v132, s[2:3], s2, v148
	v_addc_co_u32_e64 v133, s[2:3], 0, v149, s[2:3]
	global_load_dwordx4 v[112:115], v[116:117], off offset:32
	s_nop 0
	global_load_dwordx4 v[116:119], v[116:117], off offset:16
	s_nop 0
	;; [unrolled: 2-line block ×5, first 2 shown]
	global_load_dwordx4 v[132:135], v[132:133], off offset:16
	s_movk_i32 s2, 0x2880
	v_add_co_u32_e64 v144, s[2:3], s2, v148
	v_addc_co_u32_e64 v145, s[2:3], 0, v149, s[2:3]
	v_add_co_u32_e64 v136, s[2:3], s48, v148
	v_addc_co_u32_e64 v137, s[2:3], 0, v149, s[2:3]
	s_movk_i32 s2, 0x3240
	v_add_co_u32_e64 v162, s[2:3], s2, v148
	v_addc_co_u32_e64 v163, s[2:3], 0, v149, s[2:3]
	global_load_dwordx4 v[136:139], v[136:137], off offset:2176
	s_nop 0
	global_load_dwordx4 v[140:143], v[144:145], off offset:32
	s_nop 0
	global_load_dwordx4 v[144:147], v[144:145], off offset:16
	s_movk_i32 s2, 0x3000
	v_add_co_u32_e64 v148, s[2:3], s2, v148
	v_addc_co_u32_e64 v149, s[2:3], 0, v149, s[2:3]
	global_load_dwordx4 v[148:151], v[148:149], off offset:576
	s_nop 0
	global_load_dwordx4 v[158:161], v[162:163], off offset:32
	global_load_dwordx4 v[166:169], v[162:163], off offset:16
	v_add_u32_e32 v162, 0x2700, v155
	v_add_co_u32_e64 v170, s[2:3], s12, v162
	v_addc_co_u32_e64 v171, s[2:3], 0, v182, s[2:3]
	v_add_co_u32_e64 v162, s[2:3], s6, v170
	v_addc_co_u32_e64 v163, s[2:3], 0, v171, s[2:3]
	;; [unrolled: 2-line block ×3, first 2 shown]
	v_add_u32_e32 v155, 0x30c0, v155
	global_load_dwordx4 v[170:173], v[170:171], off offset:1280
	s_nop 0
	global_load_dwordx4 v[174:177], v[162:163], off offset:32
	global_load_dwordx4 v[178:181], v[162:163], off offset:16
	v_add_co_u32_e64 v155, s[2:3], s12, v155
	v_addc_co_u32_e64 v186, s[2:3], 0, v182, s[2:3]
	v_add_co_u32_e64 v162, s[2:3], s33, v155
	v_addc_co_u32_e64 v163, s[2:3], 0, v186, s[2:3]
	global_load_dwordx4 v[182:185], v[162:163], off offset:1280
	v_add_co_u32_e64 v162, s[2:3], s6, v155
	v_addc_co_u32_e64 v163, s[2:3], 0, v186, s[2:3]
	global_load_dwordx4 v[186:189], v[162:163], off offset:16
	global_load_dwordx4 v[190:193], v[162:163], off offset:32
	s_waitcnt lgkmcnt(0)
	; wave barrier
	s_waitcnt vmcnt(15) lgkmcnt(0)
	v_mul_f64 v[194:195], v[110:111], v[122:123]
	v_mul_f64 v[122:123], v[108:109], v[122:123]
	;; [unrolled: 1-line block ×6, first 2 shown]
	s_waitcnt vmcnt(14)
	v_mul_f64 v[198:199], v[94:95], v[126:127]
	v_fma_f64 v[108:109], v[108:109], v[120:121], v[194:195]
	v_fma_f64 v[110:111], v[110:111], v[120:121], -v[122:123]
	v_mul_f64 v[120:121], v[92:93], v[126:127]
	s_waitcnt vmcnt(12)
	v_mul_f64 v[122:123], v[98:99], v[134:135]
	v_mul_f64 v[126:127], v[96:97], v[134:135]
	v_fma_f64 v[102:103], v[102:103], v[116:117], -v[118:119]
	v_fma_f64 v[106:107], v[106:107], v[112:113], -v[114:115]
	v_mul_f64 v[114:115], v[76:77], v[130:131]
	s_waitcnt vmcnt(11)
	v_mul_f64 v[118:119], v[80:81], v[138:139]
	v_fma_f64 v[100:101], v[100:101], v[116:117], v[162:163]
	v_fma_f64 v[104:105], v[104:105], v[112:113], v[196:197]
	;; [unrolled: 1-line block ×3, first 2 shown]
	v_fma_f64 v[98:99], v[98:99], v[132:133], -v[126:127]
	s_waitcnt vmcnt(9)
	v_mul_f64 v[122:123], v[84:85], v[146:147]
	v_mul_f64 v[126:127], v[88:89], v[142:143]
	v_fma_f64 v[92:93], v[92:93], v[124:125], v[198:199]
	v_fma_f64 v[94:95], v[94:95], v[124:125], -v[120:121]
	v_mul_f64 v[112:113], v[78:79], v[130:131]
	v_mul_f64 v[116:117], v[82:83], v[138:139]
	;; [unrolled: 1-line block ×4, first 2 shown]
	v_fma_f64 v[78:79], v[78:79], v[128:129], -v[114:115]
	v_fma_f64 v[82:83], v[82:83], v[136:137], -v[118:119]
	;; [unrolled: 1-line block ×4, first 2 shown]
	s_waitcnt vmcnt(8)
	v_mul_f64 v[114:115], v[60:61], v[150:151]
	s_waitcnt vmcnt(6)
	v_mul_f64 v[118:119], v[64:65], v[168:169]
	v_mul_f64 v[122:123], v[68:69], v[160:161]
	v_fma_f64 v[76:77], v[76:77], v[128:129], v[112:113]
	s_waitcnt vmcnt(5)
	v_mul_f64 v[126:127], v[72:73], v[172:173]
	v_fma_f64 v[80:81], v[80:81], v[136:137], v[116:117]
	v_fma_f64 v[84:85], v[84:85], v[144:145], v[120:121]
	;; [unrolled: 1-line block ×3, first 2 shown]
	v_mul_f64 v[112:113], v[62:63], v[150:151]
	v_mul_f64 v[116:117], v[66:67], v[168:169]
	;; [unrolled: 1-line block ×4, first 2 shown]
	v_fma_f64 v[62:63], v[62:63], v[148:149], -v[114:115]
	v_fma_f64 v[66:67], v[66:67], v[166:167], -v[118:119]
	;; [unrolled: 1-line block ×4, first 2 shown]
	s_waitcnt vmcnt(3)
	v_mul_f64 v[74:75], v[52:53], v[180:181]
	v_mul_f64 v[118:119], v[56:57], v[176:177]
	s_waitcnt vmcnt(2)
	v_mul_f64 v[122:123], v[44:45], v[184:185]
	v_fma_f64 v[60:61], v[60:61], v[148:149], v[112:113]
	s_waitcnt vmcnt(1)
	v_mul_f64 v[126:127], v[48:49], v[188:189]
	v_fma_f64 v[64:65], v[64:65], v[166:167], v[116:117]
	v_fma_f64 v[68:69], v[68:69], v[158:159], v[120:121]
	v_fma_f64 v[112:113], v[72:73], v[170:171], v[124:125]
	v_mul_f64 v[72:73], v[54:55], v[180:181]
	v_mul_f64 v[116:117], v[58:59], v[176:177]
	;; [unrolled: 1-line block ×4, first 2 shown]
	v_fma_f64 v[130:131], v[54:55], v[178:179], -v[74:75]
	v_fma_f64 v[118:119], v[58:59], v[174:175], -v[118:119]
	;; [unrolled: 1-line block ×4, first 2 shown]
	v_add_f64 v[50:51], v[34:35], -v[102:103]
	v_add_f64 v[46:47], v[110:111], -v[106:107]
	;; [unrolled: 1-line block ×4, first 2 shown]
	v_fma_f64 v[128:129], v[52:53], v[178:179], v[72:73]
	v_fma_f64 v[116:117], v[56:57], v[174:175], v[116:117]
	;; [unrolled: 1-line block ×4, first 2 shown]
	v_add_f64 v[48:49], v[32:33], -v[100:101]
	v_add_f64 v[44:45], v[108:109], -v[104:105]
	;; [unrolled: 1-line block ×4, first 2 shown]
	v_fma_f64 v[54:55], v[34:35], 2.0, -v[50:51]
	v_fma_f64 v[34:35], v[110:111], 2.0, -v[46:47]
	v_fma_f64 v[78:79], v[38:39], 2.0, -v[74:75]
	v_fma_f64 v[94:95], v[94:95], 2.0, -v[58:59]
	v_fma_f64 v[52:53], v[32:33], 2.0, -v[48:49]
	v_fma_f64 v[32:33], v[108:109], 2.0, -v[44:45]
	v_fma_f64 v[76:77], v[36:37], 2.0, -v[72:73]
	v_fma_f64 v[92:93], v[92:93], 2.0, -v[56:57]
	s_waitcnt vmcnt(0)
	v_mul_f64 v[98:99], v[40:41], v[192:193]
	v_add_f64 v[34:35], v[54:55], -v[34:35]
	v_add_f64 v[36:37], v[48:49], v[46:47]
	v_add_f64 v[46:47], v[78:79], -v[94:95]
	v_mul_f64 v[96:97], v[42:43], v[192:193]
	v_add_f64 v[32:33], v[52:53], -v[32:33]
	v_add_f64 v[38:39], v[50:51], -v[44:45]
	;; [unrolled: 1-line block ×3, first 2 shown]
	v_fma_f64 v[94:95], v[42:43], v[190:191], -v[98:99]
	v_fma_f64 v[42:43], v[54:55], 2.0, -v[34:35]
	v_add_f64 v[98:99], v[62:63], -v[70:71]
	v_fma_f64 v[54:55], v[78:79], 2.0, -v[46:47]
	v_add_f64 v[78:79], v[26:27], -v[86:87]
	v_add_f64 v[86:87], v[82:83], -v[90:91]
	;; [unrolled: 1-line block ×3, first 2 shown]
	v_fma_f64 v[92:93], v[40:41], v[190:191], v[96:97]
	v_fma_f64 v[40:41], v[52:53], 2.0, -v[32:33]
	v_fma_f64 v[52:53], v[76:77], 2.0, -v[44:45]
	v_add_f64 v[76:77], v[24:25], -v[84:85]
	v_add_f64 v[84:85], v[80:81], -v[88:89]
	;; [unrolled: 1-line block ×4, first 2 shown]
	v_fma_f64 v[66:67], v[82:83], 2.0, -v[86:87]
	v_fma_f64 v[82:83], v[30:31], 2.0, -v[90:91]
	v_fma_f64 v[62:63], v[62:63], 2.0, -v[98:99]
	v_fma_f64 v[70:71], v[26:27], 2.0, -v[78:79]
	v_fma_f64 v[68:69], v[24:25], 2.0, -v[76:77]
	v_fma_f64 v[64:65], v[80:81], 2.0, -v[84:85]
	v_fma_f64 v[80:81], v[28:29], 2.0, -v[88:89]
	v_fma_f64 v[60:61], v[60:61], 2.0, -v[96:97]
	v_add_f64 v[24:25], v[72:73], v[58:59]
	v_add_f64 v[26:27], v[74:75], -v[56:57]
	v_add_f64 v[58:59], v[78:79], -v[84:85]
	;; [unrolled: 1-line block ×4, first 2 shown]
	v_add_f64 v[56:57], v[76:77], v[86:87]
	v_add_f64 v[100:101], v[16:17], -v[128:129]
	v_add_f64 v[60:61], v[80:81], -v[60:61]
	;; [unrolled: 1-line block ×3, first 2 shown]
	v_fma_f64 v[66:67], v[74:75], 2.0, -v[26:27]
	v_fma_f64 v[74:75], v[78:79], 2.0, -v[58:59]
	;; [unrolled: 1-line block ×3, first 2 shown]
	v_add_f64 v[82:83], v[90:91], -v[96:97]
	v_add_f64 v[86:87], v[112:113], -v[116:117]
	;; [unrolled: 1-line block ×8, first 2 shown]
	v_fma_f64 v[64:65], v[72:73], 2.0, -v[24:25]
	v_fma_f64 v[72:73], v[76:77], 2.0, -v[56:57]
	v_fma_f64 v[76:77], v[80:81], 2.0, -v[60:61]
	v_add_f64 v[80:81], v[88:89], v[98:99]
	v_fma_f64 v[98:99], v[16:17], 2.0, -v[100:101]
	v_fma_f64 v[104:105], v[18:19], 2.0, -v[102:103]
	;; [unrolled: 1-line block ×10, first 2 shown]
	v_add_f64 v[20:21], v[98:99], -v[94:95]
	v_add_f64 v[22:23], v[104:105], -v[106:107]
	v_add_f64 v[84:85], v[100:101], v[84:85]
	v_add_f64 v[86:87], v[102:103], -v[86:87]
	v_add_f64 v[88:89], v[112:113], -v[116:117]
	;; [unrolled: 1-line block ×3, first 2 shown]
	v_add_f64 v[92:93], v[108:109], v[92:93]
	v_add_f64 v[94:95], v[110:111], -v[96:97]
	v_fma_f64 v[48:49], v[48:49], 2.0, -v[36:37]
	v_fma_f64 v[50:51], v[50:51], 2.0, -v[38:39]
	;; [unrolled: 1-line block ×12, first 2 shown]
	ds_write_b128 v164, v[40:43]
	ds_write_b128 v164, v[48:51] offset:5408
	ds_write_b128 v164, v[32:35] offset:10816
	;; [unrolled: 1-line block ×23, first 2 shown]
	s_and_saveexec_b64 s[2:3], vcc
	s_cbranch_execz .LBB0_23
; %bb.22:
	v_mul_i32_i24_e32 v16, 3, v165
	v_mov_b32_e32 v17, 0
	v_lshlrev_b64 v[16:17], 4, v[16:17]
	v_mov_b32_e32 v18, s13
	v_add_co_u32_e32 v16, vcc, s12, v16
	v_addc_co_u32_e32 v27, vcc, v18, v17, vcc
	v_add_co_u32_e32 v24, vcc, 0x1500, v16
	v_addc_co_u32_e32 v25, vcc, 0, v27, vcc
	;; [unrolled: 2-line block ×3, first 2 shown]
	global_load_dwordx4 v[16:19], v[24:25], off offset:32
	global_load_dwordx4 v[20:23], v[24:25], off offset:16
	s_waitcnt vmcnt(1)
	v_mul_f64 v[30:31], v[14:15], v[18:19]
	global_load_dwordx4 v[24:27], v[26:27], off offset:1280
	s_waitcnt vmcnt(1)
	v_mul_f64 v[28:29], v[8:9], v[22:23]
	v_mul_f64 v[22:23], v[10:11], v[22:23]
	;; [unrolled: 1-line block ×3, first 2 shown]
	v_fma_f64 v[12:13], v[12:13], v[16:17], v[30:31]
	v_fma_f64 v[10:11], v[10:11], v[20:21], -v[28:29]
	v_fma_f64 v[8:9], v[8:9], v[20:21], v[22:23]
	v_fma_f64 v[14:15], v[14:15], v[16:17], -v[18:19]
	v_add_f64 v[10:11], v[6:7], -v[10:11]
	v_add_f64 v[8:9], v[4:5], -v[8:9]
	v_fma_f64 v[16:17], v[6:7], 2.0, -v[10:11]
	v_fma_f64 v[18:19], v[4:5], 2.0, -v[8:9]
	s_waitcnt vmcnt(0)
	v_mul_f64 v[32:33], v[0:1], v[26:27]
	v_mul_f64 v[26:27], v[2:3], v[26:27]
	v_fma_f64 v[2:3], v[2:3], v[24:25], -v[32:33]
	v_fma_f64 v[0:1], v[0:1], v[24:25], v[26:27]
	v_add_f64 v[14:15], v[2:3], -v[14:15]
	v_add_f64 v[12:13], v[0:1], -v[12:13]
	v_fma_f64 v[4:5], v[2:3], 2.0, -v[14:15]
	v_fma_f64 v[20:21], v[0:1], 2.0, -v[12:13]
	v_add_f64 v[2:3], v[10:11], -v[12:13]
	v_add_f64 v[0:1], v[8:9], v[14:15]
	v_add_f64 v[6:7], v[16:17], -v[4:5]
	v_add_f64 v[4:5], v[18:19], -v[20:21]
	v_fma_f64 v[10:11], v[10:11], 2.0, -v[2:3]
	v_fma_f64 v[8:9], v[8:9], 2.0, -v[0:1]
	;; [unrolled: 1-line block ×4, first 2 shown]
	ds_write_b128 v164, v[8:11] offset:10400
	ds_write_b128 v164, v[4:7] offset:15808
	;; [unrolled: 1-line block ×4, first 2 shown]
.LBB0_23:
	s_or_b64 exec, exec, s[2:3]
	s_waitcnt lgkmcnt(0)
	; wave barrier
	s_waitcnt lgkmcnt(0)
	s_and_saveexec_b64 s[2:3], s[0:1]
	s_cbranch_execz .LBB0_25
; %bb.24:
	v_mul_lo_u32 v0, s5, v156
	v_mul_lo_u32 v1, s4, v157
	v_mad_u64_u32 v[4:5], s[0:1], s4, v156, 0
	v_mov_b32_e32 v6, s11
	v_lshl_add_u32 v10, v154, 4, 0
	v_add3_u32 v5, v5, v1, v0
	v_lshlrev_b64 v[4:5], 4, v[4:5]
	v_mov_b32_e32 v155, 0
	v_add_co_u32_e32 v7, vcc, s10, v4
	v_addc_co_u32_e32 v6, vcc, v6, v5, vcc
	v_lshlrev_b64 v[4:5], 4, v[152:153]
	ds_read_b128 v[0:3], v10
	v_add_co_u32_e32 v11, vcc, v7, v4
	v_addc_co_u32_e32 v12, vcc, v6, v5, vcc
	v_lshlrev_b64 v[4:5], 4, v[154:155]
	v_add_co_u32_e32 v8, vcc, v11, v4
	v_addc_co_u32_e32 v9, vcc, v12, v5, vcc
	ds_read_b128 v[4:7], v10 offset:832
	s_waitcnt lgkmcnt(1)
	global_store_dwordx4 v[8:9], v[0:3], off
	s_nop 0
	v_add_u32_e32 v0, 52, v154
	v_mov_b32_e32 v1, v155
	v_lshlrev_b64 v[0:1], 4, v[0:1]
	v_add_co_u32_e32 v0, vcc, v11, v0
	v_addc_co_u32_e32 v1, vcc, v12, v1, vcc
	s_waitcnt lgkmcnt(0)
	global_store_dwordx4 v[0:1], v[4:7], off
	ds_read_b128 v[0:3], v10 offset:1664
	v_add_u32_e32 v4, 0x68, v154
	v_mov_b32_e32 v5, v155
	v_lshlrev_b64 v[4:5], 4, v[4:5]
	v_add_co_u32_e32 v8, vcc, v11, v4
	v_addc_co_u32_e32 v9, vcc, v12, v5, vcc
	ds_read_b128 v[4:7], v10 offset:2496
	s_waitcnt lgkmcnt(1)
	global_store_dwordx4 v[8:9], v[0:3], off
	s_nop 0
	v_add_u32_e32 v0, 0x9c, v154
	v_mov_b32_e32 v1, v155
	v_lshlrev_b64 v[0:1], 4, v[0:1]
	v_add_co_u32_e32 v0, vcc, v11, v0
	v_addc_co_u32_e32 v1, vcc, v12, v1, vcc
	s_waitcnt lgkmcnt(0)
	global_store_dwordx4 v[0:1], v[4:7], off
	ds_read_b128 v[0:3], v10 offset:3328
	v_add_u32_e32 v4, 0xd0, v154
	v_mov_b32_e32 v5, v155
	;; [unrolled: 17-line block ×12, first 2 shown]
	v_lshlrev_b64 v[4:5], 4, v[4:5]
	v_add_u32_e32 v154, 0x514, v154
	v_add_co_u32_e32 v8, vcc, v11, v4
	v_addc_co_u32_e32 v9, vcc, v12, v5, vcc
	ds_read_b128 v[4:7], v10 offset:20800
	s_waitcnt lgkmcnt(1)
	global_store_dwordx4 v[8:9], v[0:3], off
	s_nop 0
	v_lshlrev_b64 v[0:1], 4, v[154:155]
	v_add_co_u32_e32 v0, vcc, v11, v0
	v_addc_co_u32_e32 v1, vcc, v12, v1, vcc
	s_waitcnt lgkmcnt(0)
	global_store_dwordx4 v[0:1], v[4:7], off
.LBB0_25:
	s_endpgm
	.section	.rodata,"a",@progbits
	.p2align	6, 0x0
	.amdhsa_kernel fft_rtc_back_len1352_factors_2_13_13_4_wgs_52_tpt_52_halfLds_dp_op_CI_CI_unitstride_sbrr_C2R_dirReg
		.amdhsa_group_segment_fixed_size 0
		.amdhsa_private_segment_fixed_size 0
		.amdhsa_kernarg_size 104
		.amdhsa_user_sgpr_count 6
		.amdhsa_user_sgpr_private_segment_buffer 1
		.amdhsa_user_sgpr_dispatch_ptr 0
		.amdhsa_user_sgpr_queue_ptr 0
		.amdhsa_user_sgpr_kernarg_segment_ptr 1
		.amdhsa_user_sgpr_dispatch_id 0
		.amdhsa_user_sgpr_flat_scratch_init 0
		.amdhsa_user_sgpr_private_segment_size 0
		.amdhsa_uses_dynamic_stack 0
		.amdhsa_system_sgpr_private_segment_wavefront_offset 0
		.amdhsa_system_sgpr_workgroup_id_x 1
		.amdhsa_system_sgpr_workgroup_id_y 0
		.amdhsa_system_sgpr_workgroup_id_z 0
		.amdhsa_system_sgpr_workgroup_info 0
		.amdhsa_system_vgpr_workitem_id 0
		.amdhsa_next_free_vgpr 237
		.amdhsa_next_free_sgpr 49
		.amdhsa_reserve_vcc 1
		.amdhsa_reserve_flat_scratch 0
		.amdhsa_float_round_mode_32 0
		.amdhsa_float_round_mode_16_64 0
		.amdhsa_float_denorm_mode_32 3
		.amdhsa_float_denorm_mode_16_64 3
		.amdhsa_dx10_clamp 1
		.amdhsa_ieee_mode 1
		.amdhsa_fp16_overflow 0
		.amdhsa_exception_fp_ieee_invalid_op 0
		.amdhsa_exception_fp_denorm_src 0
		.amdhsa_exception_fp_ieee_div_zero 0
		.amdhsa_exception_fp_ieee_overflow 0
		.amdhsa_exception_fp_ieee_underflow 0
		.amdhsa_exception_fp_ieee_inexact 0
		.amdhsa_exception_int_div_zero 0
	.end_amdhsa_kernel
	.text
.Lfunc_end0:
	.size	fft_rtc_back_len1352_factors_2_13_13_4_wgs_52_tpt_52_halfLds_dp_op_CI_CI_unitstride_sbrr_C2R_dirReg, .Lfunc_end0-fft_rtc_back_len1352_factors_2_13_13_4_wgs_52_tpt_52_halfLds_dp_op_CI_CI_unitstride_sbrr_C2R_dirReg
                                        ; -- End function
	.section	.AMDGPU.csdata,"",@progbits
; Kernel info:
; codeLenInByte = 25328
; NumSgprs: 53
; NumVgprs: 237
; ScratchSize: 0
; MemoryBound: 0
; FloatMode: 240
; IeeeMode: 1
; LDSByteSize: 0 bytes/workgroup (compile time only)
; SGPRBlocks: 6
; VGPRBlocks: 59
; NumSGPRsForWavesPerEU: 53
; NumVGPRsForWavesPerEU: 237
; Occupancy: 1
; WaveLimiterHint : 1
; COMPUTE_PGM_RSRC2:SCRATCH_EN: 0
; COMPUTE_PGM_RSRC2:USER_SGPR: 6
; COMPUTE_PGM_RSRC2:TRAP_HANDLER: 0
; COMPUTE_PGM_RSRC2:TGID_X_EN: 1
; COMPUTE_PGM_RSRC2:TGID_Y_EN: 0
; COMPUTE_PGM_RSRC2:TGID_Z_EN: 0
; COMPUTE_PGM_RSRC2:TIDIG_COMP_CNT: 0
	.type	__hip_cuid_70acb2f678756cf1,@object ; @__hip_cuid_70acb2f678756cf1
	.section	.bss,"aw",@nobits
	.globl	__hip_cuid_70acb2f678756cf1
__hip_cuid_70acb2f678756cf1:
	.byte	0                               ; 0x0
	.size	__hip_cuid_70acb2f678756cf1, 1

	.ident	"AMD clang version 19.0.0git (https://github.com/RadeonOpenCompute/llvm-project roc-6.4.0 25133 c7fe45cf4b819c5991fe208aaa96edf142730f1d)"
	.section	".note.GNU-stack","",@progbits
	.addrsig
	.addrsig_sym __hip_cuid_70acb2f678756cf1
	.amdgpu_metadata
---
amdhsa.kernels:
  - .args:
      - .actual_access:  read_only
        .address_space:  global
        .offset:         0
        .size:           8
        .value_kind:     global_buffer
      - .offset:         8
        .size:           8
        .value_kind:     by_value
      - .actual_access:  read_only
        .address_space:  global
        .offset:         16
        .size:           8
        .value_kind:     global_buffer
      - .actual_access:  read_only
        .address_space:  global
        .offset:         24
        .size:           8
        .value_kind:     global_buffer
      - .actual_access:  read_only
        .address_space:  global
        .offset:         32
        .size:           8
        .value_kind:     global_buffer
      - .offset:         40
        .size:           8
        .value_kind:     by_value
      - .actual_access:  read_only
        .address_space:  global
        .offset:         48
        .size:           8
        .value_kind:     global_buffer
      - .actual_access:  read_only
        .address_space:  global
        .offset:         56
        .size:           8
        .value_kind:     global_buffer
      - .offset:         64
        .size:           4
        .value_kind:     by_value
      - .actual_access:  read_only
        .address_space:  global
        .offset:         72
        .size:           8
        .value_kind:     global_buffer
      - .actual_access:  read_only
        .address_space:  global
        .offset:         80
        .size:           8
        .value_kind:     global_buffer
      - .actual_access:  read_only
        .address_space:  global
        .offset:         88
        .size:           8
        .value_kind:     global_buffer
      - .actual_access:  write_only
        .address_space:  global
        .offset:         96
        .size:           8
        .value_kind:     global_buffer
    .group_segment_fixed_size: 0
    .kernarg_segment_align: 8
    .kernarg_segment_size: 104
    .language:       OpenCL C
    .language_version:
      - 2
      - 0
    .max_flat_workgroup_size: 52
    .name:           fft_rtc_back_len1352_factors_2_13_13_4_wgs_52_tpt_52_halfLds_dp_op_CI_CI_unitstride_sbrr_C2R_dirReg
    .private_segment_fixed_size: 0
    .sgpr_count:     53
    .sgpr_spill_count: 0
    .symbol:         fft_rtc_back_len1352_factors_2_13_13_4_wgs_52_tpt_52_halfLds_dp_op_CI_CI_unitstride_sbrr_C2R_dirReg.kd
    .uniform_work_group_size: 1
    .uses_dynamic_stack: false
    .vgpr_count:     237
    .vgpr_spill_count: 0
    .wavefront_size: 64
amdhsa.target:   amdgcn-amd-amdhsa--gfx906
amdhsa.version:
  - 1
  - 2
...

	.end_amdgpu_metadata
